;; amdgpu-corpus repo=ROCm/rocFFT kind=compiled arch=gfx950 opt=O3
	.text
	.amdgcn_target "amdgcn-amd-amdhsa--gfx950"
	.amdhsa_code_object_version 6
	.protected	fft_rtc_back_len1782_factors_11_3_3_3_3_2_wgs_99_tpt_99_halfLds_half_op_CI_CI_unitstride_sbrr_C2R_dirReg ; -- Begin function fft_rtc_back_len1782_factors_11_3_3_3_3_2_wgs_99_tpt_99_halfLds_half_op_CI_CI_unitstride_sbrr_C2R_dirReg
	.globl	fft_rtc_back_len1782_factors_11_3_3_3_3_2_wgs_99_tpt_99_halfLds_half_op_CI_CI_unitstride_sbrr_C2R_dirReg
	.p2align	8
	.type	fft_rtc_back_len1782_factors_11_3_3_3_3_2_wgs_99_tpt_99_halfLds_half_op_CI_CI_unitstride_sbrr_C2R_dirReg,@function
fft_rtc_back_len1782_factors_11_3_3_3_3_2_wgs_99_tpt_99_halfLds_half_op_CI_CI_unitstride_sbrr_C2R_dirReg: ; @fft_rtc_back_len1782_factors_11_3_3_3_3_2_wgs_99_tpt_99_halfLds_half_op_CI_CI_unitstride_sbrr_C2R_dirReg
; %bb.0:
	s_load_dwordx4 s[4:7], s[0:1], 0x58
	s_load_dwordx4 s[8:11], s[0:1], 0x0
	;; [unrolled: 1-line block ×3, first 2 shown]
	v_mul_u32_u24_e32 v1, 0x296, v0
	v_add_u32_sdwa v8, s2, v1 dst_sel:DWORD dst_unused:UNUSED_PAD src0_sel:DWORD src1_sel:WORD_1
	v_mov_b32_e32 v4, 0
	s_waitcnt lgkmcnt(0)
	v_cmp_lt_u64_e64 s[2:3], s[10:11], 2
	v_mov_b32_e32 v9, v4
	s_and_b64 vcc, exec, s[2:3]
	v_mov_b64_e32 v[10:11], 0
	s_cbranch_vccnz .LBB0_8
; %bb.1:
	s_load_dwordx2 s[2:3], s[0:1], 0x10
	s_add_u32 s16, s14, 8
	s_addc_u32 s17, s15, 0
	s_add_u32 s18, s12, 8
	s_addc_u32 s19, s13, 0
	s_waitcnt lgkmcnt(0)
	s_add_u32 s20, s2, 8
	v_mov_b64_e32 v[10:11], 0
	s_addc_u32 s21, s3, 0
	s_mov_b64 s[22:23], 1
	v_mov_b64_e32 v[2:3], v[10:11]
.LBB0_2:                                ; =>This Inner Loop Header: Depth=1
	s_load_dwordx2 s[24:25], s[20:21], 0x0
                                        ; implicit-def: $vgpr6_vgpr7
	s_waitcnt lgkmcnt(0)
	v_or_b32_e32 v5, s25, v9
	v_cmp_ne_u64_e32 vcc, 0, v[4:5]
	s_and_saveexec_b64 s[2:3], vcc
	s_xor_b64 s[26:27], exec, s[2:3]
	s_cbranch_execz .LBB0_4
; %bb.3:                                ;   in Loop: Header=BB0_2 Depth=1
	v_cvt_f32_u32_e32 v1, s24
	v_cvt_f32_u32_e32 v5, s25
	s_sub_u32 s2, 0, s24
	s_subb_u32 s3, 0, s25
	v_fmac_f32_e32 v1, 0x4f800000, v5
	v_rcp_f32_e32 v1, v1
	s_nop 0
	v_mul_f32_e32 v1, 0x5f7ffffc, v1
	v_mul_f32_e32 v5, 0x2f800000, v1
	v_trunc_f32_e32 v5, v5
	v_fmac_f32_e32 v1, 0xcf800000, v5
	v_cvt_u32_f32_e32 v5, v5
	v_cvt_u32_f32_e32 v1, v1
	v_mul_lo_u32 v6, s2, v5
	v_mul_hi_u32 v12, s2, v1
	v_mul_lo_u32 v7, s3, v1
	v_add_u32_e32 v12, v12, v6
	v_mul_lo_u32 v14, s2, v1
	v_add_u32_e32 v15, v12, v7
	v_mul_hi_u32 v6, v1, v14
	v_mul_hi_u32 v13, v1, v15
	v_mul_lo_u32 v12, v1, v15
	v_mov_b32_e32 v7, v4
	v_lshl_add_u64 v[6:7], v[6:7], 0, v[12:13]
	v_mul_hi_u32 v13, v5, v14
	v_mul_lo_u32 v14, v5, v14
	v_add_co_u32_e32 v6, vcc, v6, v14
	v_mul_hi_u32 v12, v5, v15
	s_nop 0
	v_addc_co_u32_e32 v6, vcc, v7, v13, vcc
	v_mov_b32_e32 v7, v4
	s_nop 0
	v_addc_co_u32_e32 v13, vcc, 0, v12, vcc
	v_mul_lo_u32 v12, v5, v15
	v_lshl_add_u64 v[6:7], v[6:7], 0, v[12:13]
	v_add_co_u32_e32 v1, vcc, v1, v6
	v_mul_lo_u32 v12, s2, v1
	s_nop 0
	v_addc_co_u32_e32 v5, vcc, v5, v7, vcc
	v_mul_lo_u32 v6, s2, v5
	v_mul_hi_u32 v7, s2, v1
	v_add_u32_e32 v6, v7, v6
	v_mul_lo_u32 v7, s3, v1
	v_add_u32_e32 v14, v6, v7
	v_mul_hi_u32 v16, v5, v12
	v_mul_lo_u32 v17, v5, v12
	v_mul_hi_u32 v7, v1, v14
	v_mul_lo_u32 v6, v1, v14
	v_mul_hi_u32 v12, v1, v12
	v_mov_b32_e32 v13, v4
	v_lshl_add_u64 v[6:7], v[12:13], 0, v[6:7]
	v_add_co_u32_e32 v6, vcc, v6, v17
	v_mul_hi_u32 v15, v5, v14
	s_nop 0
	v_addc_co_u32_e32 v6, vcc, v7, v16, vcc
	v_mul_lo_u32 v12, v5, v14
	s_nop 0
	v_addc_co_u32_e32 v13, vcc, 0, v15, vcc
	v_mov_b32_e32 v7, v4
	v_lshl_add_u64 v[6:7], v[6:7], 0, v[12:13]
	v_add_co_u32_e32 v1, vcc, v1, v6
	v_mul_hi_u32 v12, v8, v1
	s_nop 0
	v_addc_co_u32_e32 v5, vcc, v5, v7, vcc
	v_mad_u64_u32 v[6:7], s[2:3], v8, v5, 0
	v_mov_b32_e32 v13, v4
	v_lshl_add_u64 v[6:7], v[12:13], 0, v[6:7]
	v_mad_u64_u32 v[14:15], s[2:3], v9, v1, 0
	v_add_co_u32_e32 v1, vcc, v6, v14
	v_mad_u64_u32 v[12:13], s[2:3], v9, v5, 0
	s_nop 0
	v_addc_co_u32_e32 v6, vcc, v7, v15, vcc
	v_mov_b32_e32 v7, v4
	s_nop 0
	v_addc_co_u32_e32 v13, vcc, 0, v13, vcc
	v_lshl_add_u64 v[6:7], v[6:7], 0, v[12:13]
	v_mul_lo_u32 v1, s25, v6
	v_mul_lo_u32 v5, s24, v7
	v_mad_u64_u32 v[12:13], s[2:3], s24, v6, 0
	v_add3_u32 v1, v13, v5, v1
	v_sub_u32_e32 v5, v9, v1
	v_mov_b32_e32 v13, s25
	v_sub_co_u32_e32 v16, vcc, v8, v12
	v_lshl_add_u64 v[14:15], v[6:7], 0, 1
	s_nop 0
	v_subb_co_u32_e64 v5, s[2:3], v5, v13, vcc
	v_subrev_co_u32_e64 v12, s[2:3], s24, v16
	v_subb_co_u32_e32 v1, vcc, v9, v1, vcc
	s_nop 0
	v_subbrev_co_u32_e64 v5, s[2:3], 0, v5, s[2:3]
	v_cmp_le_u32_e64 s[2:3], s25, v5
	v_cmp_le_u32_e32 vcc, s25, v1
	s_nop 0
	v_cndmask_b32_e64 v13, 0, -1, s[2:3]
	v_cmp_le_u32_e64 s[2:3], s24, v12
	s_nop 1
	v_cndmask_b32_e64 v12, 0, -1, s[2:3]
	v_cmp_eq_u32_e64 s[2:3], s25, v5
	s_nop 1
	v_cndmask_b32_e64 v5, v13, v12, s[2:3]
	v_lshl_add_u64 v[12:13], v[6:7], 0, 2
	v_cmp_ne_u32_e64 s[2:3], 0, v5
	s_nop 1
	v_cndmask_b32_e64 v5, v15, v13, s[2:3]
	v_cndmask_b32_e64 v13, 0, -1, vcc
	v_cmp_le_u32_e32 vcc, s24, v16
	s_nop 1
	v_cndmask_b32_e64 v15, 0, -1, vcc
	v_cmp_eq_u32_e32 vcc, s25, v1
	s_nop 1
	v_cndmask_b32_e32 v1, v13, v15, vcc
	v_cmp_ne_u32_e32 vcc, 0, v1
	v_cndmask_b32_e64 v1, v14, v12, s[2:3]
	s_nop 0
	v_cndmask_b32_e32 v7, v7, v5, vcc
	v_cndmask_b32_e32 v6, v6, v1, vcc
.LBB0_4:                                ;   in Loop: Header=BB0_2 Depth=1
	s_andn2_saveexec_b64 s[2:3], s[26:27]
	s_cbranch_execz .LBB0_6
; %bb.5:                                ;   in Loop: Header=BB0_2 Depth=1
	v_cvt_f32_u32_e32 v1, s24
	s_sub_i32 s26, 0, s24
	v_rcp_iflag_f32_e32 v1, v1
	s_nop 0
	v_mul_f32_e32 v1, 0x4f7ffffe, v1
	v_cvt_u32_f32_e32 v1, v1
	v_mul_lo_u32 v5, s26, v1
	v_mul_hi_u32 v5, v1, v5
	v_add_u32_e32 v1, v1, v5
	v_mul_hi_u32 v1, v8, v1
	v_mul_lo_u32 v5, v1, s24
	v_sub_u32_e32 v5, v8, v5
	v_add_u32_e32 v6, 1, v1
	v_subrev_u32_e32 v7, s24, v5
	v_cmp_le_u32_e32 vcc, s24, v5
	s_nop 1
	v_cndmask_b32_e32 v5, v5, v7, vcc
	v_cndmask_b32_e32 v1, v1, v6, vcc
	v_add_u32_e32 v6, 1, v1
	v_cmp_le_u32_e32 vcc, s24, v5
	v_mov_b32_e32 v7, v4
	s_nop 0
	v_cndmask_b32_e32 v6, v1, v6, vcc
.LBB0_6:                                ;   in Loop: Header=BB0_2 Depth=1
	s_or_b64 exec, exec, s[2:3]
	v_mad_u64_u32 v[12:13], s[2:3], v6, s24, 0
	s_load_dwordx2 s[2:3], s[18:19], 0x0
	v_mul_lo_u32 v1, v7, s24
	v_mul_lo_u32 v5, v6, s25
	s_load_dwordx2 s[24:25], s[16:17], 0x0
	s_add_u32 s22, s22, 1
	v_add3_u32 v1, v13, v5, v1
	v_sub_co_u32_e32 v5, vcc, v8, v12
	s_addc_u32 s23, s23, 0
	s_nop 0
	v_subb_co_u32_e32 v1, vcc, v9, v1, vcc
	s_add_u32 s16, s16, 8
	s_waitcnt lgkmcnt(0)
	v_mul_lo_u32 v8, s2, v1
	v_mul_lo_u32 v9, s3, v5
	v_mad_u64_u32 v[10:11], s[2:3], s2, v5, v[10:11]
	s_addc_u32 s17, s17, 0
	v_add3_u32 v11, v9, v11, v8
	v_mul_lo_u32 v1, s24, v1
	v_mul_lo_u32 v8, s25, v5
	v_mad_u64_u32 v[2:3], s[2:3], s24, v5, v[2:3]
	s_add_u32 s18, s18, 8
	v_add3_u32 v3, v8, v3, v1
	s_addc_u32 s19, s19, 0
	v_mov_b64_e32 v[8:9], s[10:11]
	s_add_u32 s20, s20, 8
	v_cmp_ge_u64_e32 vcc, s[22:23], v[8:9]
	s_addc_u32 s21, s21, 0
	s_cbranch_vccnz .LBB0_9
; %bb.7:                                ;   in Loop: Header=BB0_2 Depth=1
	v_mov_b64_e32 v[8:9], v[6:7]
	s_branch .LBB0_2
.LBB0_8:
	v_mov_b64_e32 v[2:3], v[10:11]
	v_mov_b64_e32 v[6:7], v[8:9]
.LBB0_9:
	s_load_dwordx2 s[18:19], s[0:1], 0x28
	s_lshl_b64 s[16:17], s[10:11], 3
	s_add_u32 s2, s14, s16
	s_addc_u32 s3, s15, s17
                                        ; implicit-def: $vgpr4
                                        ; implicit-def: $vgpr8_vgpr9
	s_waitcnt lgkmcnt(0)
	v_cmp_gt_u64_e64 s[0:1], s[18:19], v[6:7]
	v_cmp_le_u64_e32 vcc, s[18:19], v[6:7]
	s_and_saveexec_b64 s[10:11], vcc
	s_xor_b64 s[10:11], exec, s[10:11]
; %bb.10:
	s_mov_b32 s14, 0x295fad5
	v_mul_hi_u32 v1, v0, s14
	v_mul_u32_u24_e32 v1, 0x63, v1
	v_sub_u32_e32 v4, v0, v1
	v_mov_b32_e32 v5, 0
	v_mov_b64_e32 v[8:9], v[4:5]
                                        ; implicit-def: $vgpr0
                                        ; implicit-def: $vgpr10_vgpr11
; %bb.11:
	s_or_saveexec_b64 s[10:11], s[10:11]
	s_load_dwordx2 s[2:3], s[2:3], 0x0
	s_xor_b64 exec, exec, s[10:11]
	s_cbranch_execz .LBB0_15
; %bb.12:
	s_add_u32 s12, s12, s16
	s_addc_u32 s13, s13, s17
	s_load_dwordx2 s[12:13], s[12:13], 0x0
	s_mov_b32 s14, 0x295fad5
	v_mov_b32_e32 v5, 0
	s_waitcnt lgkmcnt(0)
	v_mul_lo_u32 v1, s13, v6
	v_mul_lo_u32 v4, s12, v7
	v_mad_u64_u32 v[8:9], s[12:13], s12, v6, 0
	v_add3_u32 v9, v9, v4, v1
	v_mul_hi_u32 v1, v0, s14
	v_mul_u32_u24_e32 v1, 0x63, v1
	v_sub_u32_e32 v4, v0, v1
	v_lshl_add_u64 v[0:1], v[8:9], 2, s[4:5]
	v_lshl_add_u64 v[0:1], v[10:11], 2, v[0:1]
	v_lshlrev_b32_e32 v8, 2, v4
	v_mov_b32_e32 v9, v5
	v_lshl_add_u64 v[10:11], v[0:1], 0, v[8:9]
	s_movk_i32 s4, 0x1000
	v_add_co_u32_e32 v12, vcc, s4, v10
	global_load_dword v9, v[10:11], off
	global_load_dword v14, v[10:11], off offset:396
	global_load_dword v15, v[10:11], off offset:792
	;; [unrolled: 1-line block ×7, first 2 shown]
	v_addc_co_u32_e32 v13, vcc, 0, v11, vcc
	global_load_dword v21, v[10:11], off offset:3168
	global_load_dword v22, v[10:11], off offset:3564
	;; [unrolled: 1-line block ×10, first 2 shown]
	s_movk_i32 s4, 0x62
	v_add_u32_e32 v8, 0, v8
	v_cmp_eq_u32_e32 vcc, s4, v4
	v_add_u32_e32 v10, 0x200, v8
	v_add_u32_e32 v11, 0x400, v8
	;; [unrolled: 1-line block ×8, first 2 shown]
	s_waitcnt vmcnt(16)
	ds_write2_b32 v8, v9, v14 offset1:99
	s_waitcnt vmcnt(14)
	ds_write2_b32 v10, v15, v16 offset0:70 offset1:169
	s_waitcnt vmcnt(12)
	ds_write2_b32 v11, v17, v18 offset0:140 offset1:239
	s_waitcnt vmcnt(10)
	ds_write2_b32 v12, v19, v20 offset0:82 offset1:181
	s_waitcnt vmcnt(8)
	ds_write2_b32 v13, v21, v22 offset0:24 offset1:123
	s_waitcnt vmcnt(6)
	ds_write2_b32 v31, v23, v24 offset0:94 offset1:193
	s_waitcnt vmcnt(4)
	ds_write2_b32 v32, v25, v26 offset0:36 offset1:135
	s_waitcnt vmcnt(2)
	ds_write2_b32 v33, v27, v28 offset0:106 offset1:205
	s_waitcnt vmcnt(0)
	ds_write2_b32 v34, v29, v30 offset0:48 offset1:147
	v_mov_b64_e32 v[8:9], v[4:5]
	s_and_saveexec_b64 s[4:5], vcc
	s_cbranch_execz .LBB0_14
; %bb.13:
	v_add_co_u32_e32 v0, vcc, 0x1000, v0
	v_mov_b32_e32 v4, 0x62
	s_nop 0
	v_addc_co_u32_e32 v1, vcc, 0, v1, vcc
	global_load_dword v0, v[0:1], off offset:3032
	v_mov_b64_e32 v[8:9], 0x62
	s_waitcnt vmcnt(0)
	ds_write_b32 v5, v0 offset:7128
.LBB0_14:
	s_or_b64 exec, exec, s[4:5]
.LBB0_15:
	s_or_b64 exec, exec, s[10:11]
	v_lshlrev_b32_e32 v0, 2, v4
	v_add_u32_e32 v38, 0, v0
	s_waitcnt lgkmcnt(0)
	s_barrier
	v_sub_u32_e32 v16, 0, v0
	ds_read_u16 v0, v38
	ds_read_u16 v1, v16 offset:7128
	s_add_u32 s4, s8, 0x1bac
	s_addc_u32 s5, s9, 0
	v_cmp_ne_u32_e32 vcc, 0, v4
	s_waitcnt lgkmcnt(0)
	v_add_f16_e32 v15, v1, v0
	v_sub_f16_e32 v17, v0, v1
	s_and_saveexec_b64 s[10:11], vcc
	s_xor_b64 s[10:11], exec, s[10:11]
	s_cbranch_execz .LBB0_17
; %bb.16:
	v_lshl_add_u64 v[10:11], v[8:9], 2, s[4:5]
	global_load_dword v5, v[10:11], off
	ds_read_u16 v10, v16 offset:7130
	ds_read_u16 v11, v38 offset:2
	v_add_f16_e32 v12, v1, v0
	v_sub_f16_e32 v0, v0, v1
	s_waitcnt lgkmcnt(0)
	v_add_f16_e32 v1, v10, v11
	v_sub_f16_e32 v10, v11, v10
	s_waitcnt vmcnt(0)
	v_lshrrev_b32_e32 v11, 16, v5
	v_fma_f16 v13, v0, v11, v12
	v_fma_f16 v14, v1, v11, v10
	v_fma_f16 v12, -v0, v11, v12
	v_fma_f16 v10, v1, v11, -v10
	v_fma_f16 v15, -v5, v1, v13
	v_fma_f16 v17, v0, v5, v14
	v_fma_f16 v1, v5, v1, v12
	;; [unrolled: 1-line block ×3, first 2 shown]
	v_pack_b32_f16 v0, v1, v0
	ds_write_b32 v16, v0 offset:7128
.LBB0_17:
	s_andn2_saveexec_b64 s[10:11], s[10:11]
	s_cbranch_execz .LBB0_19
; %bb.18:
	v_mov_b32_e32 v0, 0
	ds_read_b32 v1, v0 offset:3564
	s_mov_b32 s12, 0xc0004000
	s_waitcnt lgkmcnt(0)
	v_pk_mul_f16 v1, v1, s12
	ds_write_b32 v0, v1 offset:3564
.LBB0_19:
	s_or_b64 exec, exec, s[10:11]
	v_mov_b32_e32 v5, 0
	v_lshl_add_u64 v[18:19], v[4:5], 2, s[4:5]
	global_load_dword v22, v[18:19], off offset:396
	v_add_u32_e32 v0, 0xc6, v4
	v_mov_b32_e32 v1, v5
	v_lshl_add_u64 v[10:11], v[0:1], 2, s[4:5]
	global_load_dword v23, v[10:11], off
	v_add_u32_e32 v10, 0x129, v4
	v_mov_b32_e32 v11, v5
	v_lshl_add_u64 v[12:13], v[10:11], 2, s[4:5]
	global_load_dword v24, v[12:13], off
	;; [unrolled: 4-line block ×3, first 2 shown]
	s_mov_b32 s12, 0x5040100
	v_perm_b32 v17, v17, v15, s12
	v_add_u32_e32 v14, 0x1ef, v4
	v_mov_b32_e32 v15, v5
	ds_write_b32 v38, v17
	v_lshl_add_u64 v[20:21], v[14:15], 2, s[4:5]
	ds_read_b32 v17, v38 offset:396
	ds_read_b32 v26, v16 offset:6732
	global_load_dword v27, v[18:19], off offset:2376
	global_load_dword v28, v[18:19], off offset:2772
	global_load_dword v29, v[20:21], off
	global_load_dword v30, v[18:19], off offset:3168
	v_lshl_add_u32 v39, v0, 2, 0
	v_lshl_add_u32 v40, v10, 2, 0
	;; [unrolled: 1-line block ×3, first 2 shown]
	s_waitcnt lgkmcnt(0)
	v_add_f16_e32 v18, v17, v26
	v_add_f16_sdwa v19, v26, v17 dst_sel:DWORD dst_unused:UNUSED_PAD src0_sel:WORD_1 src1_sel:WORD_1
	v_sub_f16_e32 v20, v17, v26
	v_sub_f16_sdwa v17, v17, v26 dst_sel:DWORD dst_unused:UNUSED_PAD src0_sel:WORD_1 src1_sel:WORD_1
	v_lshl_add_u32 v42, v14, 2, 0
	v_add_u32_e32 v50, 0x200, v38
	v_add_u32_e32 v45, 0x1800, v38
	;; [unrolled: 1-line block ×5, first 2 shown]
	s_mov_b32 s15, 0xbb47
	s_movk_i32 s14, 0x36a6
	s_mov_b32 s20, 0xba0c
	s_mov_b32 s10, 0xffff
	;; [unrolled: 1-line block ×5, first 2 shown]
	s_movk_i32 s26, 0x3482
	s_movk_i32 s22, 0x3beb
	s_mov_b32 s19, 0xbbad
	s_mov_b32 s21, 0xb482
	v_add_u32_e32 v43, 0x800, v38
	v_add_u32_e32 v32, 0x1000, v38
	s_movk_i32 s23, 0x3b47
	s_mov_b32 s25, 0xb853
	s_movk_i32 s24, 0x3abb
	v_add_u32_e32 v47, 0xc00, v38
	v_add_u32_e32 v49, 0xe00, v38
	s_movk_i32 s27, 0x3853
	s_movk_i32 s28, 0x3a0c
	;; [unrolled: 1-line block ×4, first 2 shown]
	v_cmp_gt_u32_e32 vcc, 63, v4
	s_waitcnt vmcnt(7)
	v_lshrrev_b32_e32 v21, 16, v22
	v_fma_f16 v26, v20, v21, v18
	v_fma_f16 v31, v19, v21, v17
	v_fma_f16 v18, -v20, v21, v18
	v_fma_f16 v17, v19, v21, -v17
	v_fma_f16 v21, -v22, v19, v26
	v_fma_f16 v26, v20, v22, v31
	v_fma_f16 v18, v22, v19, v18
	;; [unrolled: 1-line block ×3, first 2 shown]
	v_pack_b32_f16 v19, v21, v26
	v_pack_b32_f16 v17, v18, v17
	ds_write_b32 v38, v19 offset:396
	ds_write_b32 v16, v17 offset:6732
	ds_read_b32 v17, v39
	ds_read_b32 v18, v16 offset:6336
	s_waitcnt vmcnt(6)
	v_lshrrev_b32_e32 v19, 16, v23
	s_waitcnt lgkmcnt(0)
	v_add_f16_e32 v20, v17, v18
	v_add_f16_sdwa v21, v18, v17 dst_sel:DWORD dst_unused:UNUSED_PAD src0_sel:WORD_1 src1_sel:WORD_1
	v_sub_f16_e32 v22, v17, v18
	v_sub_f16_sdwa v17, v17, v18 dst_sel:DWORD dst_unused:UNUSED_PAD src0_sel:WORD_1 src1_sel:WORD_1
	v_fma_f16 v18, v22, v19, v20
	v_fma_f16 v26, v21, v19, v17
	v_fma_f16 v20, -v22, v19, v20
	v_fma_f16 v17, v21, v19, -v17
	v_fma_f16 v18, -v23, v21, v18
	v_fma_f16 v19, v22, v23, v26
	v_fma_f16 v20, v23, v21, v20
	v_fma_f16 v17, v22, v23, v17
	v_pack_b32_f16 v18, v18, v19
	v_pack_b32_f16 v17, v20, v17
	ds_write_b32 v39, v18
	ds_write_b32 v16, v17 offset:6336
	ds_read_b32 v17, v40
	ds_read_b32 v18, v16 offset:5940
	s_waitcnt vmcnt(5)
	v_lshrrev_b32_e32 v19, 16, v24
	s_waitcnt lgkmcnt(0)
	v_add_f16_e32 v20, v17, v18
	v_add_f16_sdwa v21, v18, v17 dst_sel:DWORD dst_unused:UNUSED_PAD src0_sel:WORD_1 src1_sel:WORD_1
	v_sub_f16_e32 v22, v17, v18
	v_sub_f16_sdwa v17, v17, v18 dst_sel:DWORD dst_unused:UNUSED_PAD src0_sel:WORD_1 src1_sel:WORD_1
	v_fma_f16 v18, v22, v19, v20
	v_fma_f16 v23, v21, v19, v17
	v_fma_f16 v20, -v22, v19, v20
	v_fma_f16 v17, v21, v19, -v17
	v_fma_f16 v18, -v24, v21, v18
	v_fma_f16 v19, v22, v24, v23
	v_fma_f16 v20, v24, v21, v20
	v_fma_f16 v17, v22, v24, v17
	v_pack_b32_f16 v18, v18, v19
	v_pack_b32_f16 v17, v20, v17
	ds_write_b32 v40, v18
	ds_write_b32 v16, v17 offset:5940
	ds_read_b32 v17, v41
	ds_read_b32 v18, v16 offset:5544
	s_waitcnt vmcnt(4)
	v_lshrrev_b32_e32 v19, 16, v25
	s_waitcnt lgkmcnt(0)
	v_add_f16_e32 v20, v17, v18
	v_add_f16_sdwa v21, v18, v17 dst_sel:DWORD dst_unused:UNUSED_PAD src0_sel:WORD_1 src1_sel:WORD_1
	v_sub_f16_e32 v22, v17, v18
	v_sub_f16_sdwa v17, v17, v18 dst_sel:DWORD dst_unused:UNUSED_PAD src0_sel:WORD_1 src1_sel:WORD_1
	v_fma_f16 v18, v22, v19, v20
	v_fma_f16 v23, v21, v19, v17
	v_fma_f16 v20, -v22, v19, v20
	v_fma_f16 v17, v21, v19, -v17
	v_fma_f16 v18, -v25, v21, v18
	v_fma_f16 v19, v22, v25, v23
	v_fma_f16 v20, v25, v21, v20
	v_fma_f16 v17, v22, v25, v17
	v_pack_b32_f16 v18, v18, v19
	v_pack_b32_f16 v17, v20, v17
	ds_write_b32 v41, v18
	ds_write_b32 v16, v17 offset:5544
	ds_read_b32 v17, v42
	ds_read_b32 v18, v16 offset:5148
	s_waitcnt vmcnt(1)
	v_lshrrev_b32_e32 v19, 16, v29
	s_waitcnt lgkmcnt(0)
	v_add_f16_e32 v20, v17, v18
	v_add_f16_sdwa v21, v18, v17 dst_sel:DWORD dst_unused:UNUSED_PAD src0_sel:WORD_1 src1_sel:WORD_1
	v_sub_f16_e32 v22, v17, v18
	v_sub_f16_sdwa v17, v17, v18 dst_sel:DWORD dst_unused:UNUSED_PAD src0_sel:WORD_1 src1_sel:WORD_1
	v_fma_f16 v18, v22, v19, v20
	v_fma_f16 v23, v21, v19, v17
	v_fma_f16 v20, -v22, v19, v20
	v_fma_f16 v17, v21, v19, -v17
	v_fma_f16 v18, -v29, v21, v18
	v_fma_f16 v19, v22, v29, v23
	v_fma_f16 v20, v29, v21, v20
	v_fma_f16 v17, v22, v29, v17
	v_pack_b32_f16 v18, v18, v19
	v_pack_b32_f16 v17, v20, v17
	ds_write_b32 v42, v18
	ds_write_b32 v16, v17 offset:5148
	ds_read_b32 v17, v38 offset:2376
	ds_read_b32 v18, v16 offset:4752
	v_lshrrev_b32_e32 v19, 16, v27
	s_waitcnt lgkmcnt(0)
	v_add_f16_e32 v20, v17, v18
	v_add_f16_sdwa v21, v18, v17 dst_sel:DWORD dst_unused:UNUSED_PAD src0_sel:WORD_1 src1_sel:WORD_1
	v_sub_f16_e32 v22, v17, v18
	v_sub_f16_sdwa v17, v17, v18 dst_sel:DWORD dst_unused:UNUSED_PAD src0_sel:WORD_1 src1_sel:WORD_1
	v_fma_f16 v18, v22, v19, v20
	v_fma_f16 v23, v21, v19, v17
	v_fma_f16 v18, -v27, v21, v18
	v_fma_f16 v23, v22, v27, v23
	v_pack_b32_f16 v18, v18, v23
	ds_write_b32 v38, v18 offset:2376
	v_fma_f16 v18, -v22, v19, v20
	v_fma_f16 v17, v21, v19, -v17
	v_fma_f16 v18, v27, v21, v18
	v_fma_f16 v17, v22, v27, v17
	v_pack_b32_f16 v17, v18, v17
	ds_write_b32 v16, v17 offset:4752
	ds_read_b32 v17, v38 offset:2772
	ds_read_b32 v18, v16 offset:4356
	s_waitcnt lgkmcnt(0)
	v_add_f16_e32 v19, v17, v18
	v_add_f16_sdwa v20, v18, v17 dst_sel:DWORD dst_unused:UNUSED_PAD src0_sel:WORD_1 src1_sel:WORD_1
	v_sub_f16_e32 v21, v17, v18
	v_sub_f16_sdwa v17, v17, v18 dst_sel:DWORD dst_unused:UNUSED_PAD src0_sel:WORD_1 src1_sel:WORD_1
	v_lshrrev_b32_e32 v18, 16, v28
	v_fma_f16 v22, v21, v18, v19
	v_fma_f16 v23, v20, v18, v17
	v_fma_f16 v19, -v21, v18, v19
	v_fma_f16 v17, v20, v18, -v17
	v_fma_f16 v22, -v28, v20, v22
	v_fma_f16 v23, v21, v28, v23
	v_fma_f16 v19, v28, v20, v19
	;; [unrolled: 1-line block ×3, first 2 shown]
	v_pack_b32_f16 v22, v22, v23
	v_pack_b32_f16 v17, v19, v17
	ds_write_b32 v38, v22 offset:2772
	ds_write_b32 v16, v17 offset:4356
	ds_read_b32 v17, v38 offset:3168
	ds_read_b32 v18, v16 offset:3960
	s_waitcnt lgkmcnt(0)
	v_add_f16_e32 v19, v17, v18
	v_add_f16_sdwa v20, v18, v17 dst_sel:DWORD dst_unused:UNUSED_PAD src0_sel:WORD_1 src1_sel:WORD_1
	v_sub_f16_e32 v21, v17, v18
	v_sub_f16_sdwa v17, v17, v18 dst_sel:DWORD dst_unused:UNUSED_PAD src0_sel:WORD_1 src1_sel:WORD_1
	s_waitcnt vmcnt(0)
	v_lshrrev_b32_e32 v18, 16, v30
	v_fma_f16 v22, v21, v18, v19
	v_fma_f16 v23, v20, v18, v17
	v_fma_f16 v19, -v21, v18, v19
	v_fma_f16 v17, v20, v18, -v17
	v_fma_f16 v22, -v30, v20, v22
	v_fma_f16 v23, v21, v30, v23
	v_fma_f16 v19, v30, v20, v19
	;; [unrolled: 1-line block ×3, first 2 shown]
	v_pack_b32_f16 v22, v22, v23
	v_pack_b32_f16 v17, v19, v17
	v_add_u32_e32 v18, 0x600, v38
	ds_write_b32 v38, v22 offset:3168
	ds_write_b32 v16, v17 offset:3960
	s_waitcnt lgkmcnt(0)
	s_barrier
	s_barrier
	ds_read2_b32 v[24:25], v50 offset0:34 offset1:133
	ds_read2_b32 v[28:29], v18 offset0:102 offset1:201
	;; [unrolled: 1-line block ×5, first 2 shown]
	ds_read2_b32 v[16:17], v38 offset1:99
	ds_read2_b32 v[22:23], v46 offset0:16 offset1:115
	s_waitcnt lgkmcnt(4)
	v_pk_add_f16 v52, v24, v18 neg_lo:[0,1] neg_hi:[0,1]
	v_pk_add_f16 v51, v18, v24
	v_pk_mul_f16 v33, v52, s15 op_sel_hi:[1,0]
	s_waitcnt lgkmcnt(2)
	v_pk_add_f16 v58, v26, v20 neg_lo:[0,1] neg_hi:[0,1]
	v_pk_fma_f16 v53, v51, s14, v33 op_sel:[0,0,1] op_sel_hi:[1,0,0]
	v_pk_fma_f16 v54, v51, s14, v33 op_sel:[0,0,1] op_sel_hi:[1,0,0] neg_lo:[0,0,1] neg_hi:[0,0,1]
	v_pk_add_f16 v57, v20, v26
	v_pk_mul_f16 v36, v58, s20 op_sel_hi:[1,0]
	v_bfi_b32 v33, s10, v53, v54
	v_mul_f16_sdwa v55, v52, s17 dst_sel:DWORD dst_unused:UNUSED_PAD src0_sel:WORD_1 src1_sel:DWORD
	v_pk_fma_f16 v59, v57, s18, v36 op_sel:[0,0,1] op_sel_hi:[1,0,0]
	v_pk_fma_f16 v60, v57, s18, v36 op_sel:[0,0,1] op_sel_hi:[1,0,0] neg_lo:[0,0,1] neg_hi:[0,0,1]
	s_waitcnt lgkmcnt(1)
	v_pk_add_f16 v33, v16, v33
	v_fma_f16 v34, v51, s16, v55
	v_mul_f16_sdwa v56, v51, s16 dst_sel:DWORD dst_unused:UNUSED_PAD src0_sel:WORD_1 src1_sel:DWORD
	v_bfi_b32 v36, s10, v59, v60
	v_mul_f16_sdwa v61, v58, s26 dst_sel:DWORD dst_unused:UNUSED_PAD src0_sel:WORD_1 src1_sel:DWORD
	v_add_f16_e32 v34, v16, v34
	v_fma_f16 v35, v52, s22, v56
	v_pk_add_f16 v33, v36, v33
	v_fma_f16 v36, v57, s19, v61
	v_mul_f16_sdwa v62, v57, s19 dst_sel:DWORD dst_unused:UNUSED_PAD src0_sel:WORD_1 src1_sel:DWORD
	v_add_f16_sdwa v35, v16, v35 dst_sel:DWORD dst_unused:UNUSED_PAD src0_sel:WORD_1 src1_sel:DWORD
	v_add_f16_e32 v34, v36, v34
	v_fma_f16 v36, v58, s21, v62
	s_waitcnt lgkmcnt(0)
	v_pk_add_f16 v64, v28, v22 neg_lo:[0,1] neg_hi:[0,1]
	v_add_f16_e32 v35, v36, v35
	v_pk_add_f16 v63, v22, v28
	v_pk_mul_f16 v36, v64, s26 op_sel_hi:[1,0]
	ds_read2_b32 v[30:31], v43 offset0:136 offset1:235
	v_pk_fma_f16 v65, v63, s19, v36 op_sel:[0,0,1] op_sel_hi:[1,0,0]
	v_pk_fma_f16 v66, v63, s19, v36 op_sel:[0,0,1] op_sel_hi:[1,0,0] neg_lo:[0,0,1] neg_hi:[0,0,1]
	v_mul_f16_sdwa v67, v64, s23 dst_sel:DWORD dst_unused:UNUSED_PAD src0_sel:WORD_1 src1_sel:DWORD
	v_bfi_b32 v36, s10, v65, v66
	v_pk_add_f16 v36, v36, v33
	ds_read2_b32 v[32:33], v32 offset0:110 offset1:209
	v_fma_f16 v37, v63, s14, v67
	v_mul_f16_sdwa v68, v63, s14 dst_sel:DWORD dst_unused:UNUSED_PAD src0_sel:WORD_1 src1_sel:DWORD
	v_add_f16_e32 v34, v37, v34
	v_fma_f16 v37, v64, s15, v68
	s_waitcnt lgkmcnt(0)
	v_pk_add_f16 v71, v30, v32 neg_lo:[0,1] neg_hi:[0,1]
	v_add_f16_e32 v69, v37, v35
	v_pk_add_f16 v70, v32, v30
	v_pk_mul_f16 v35, v71, s22 op_sel_hi:[1,0]
	v_mul_f16_sdwa v75, v71, s25 dst_sel:DWORD dst_unused:UNUSED_PAD src0_sel:WORD_1 src1_sel:DWORD
	v_pk_fma_f16 v72, v70, s16, v35 op_sel:[0,0,1] op_sel_hi:[1,0,0]
	v_pk_fma_f16 v73, v70, s16, v35 op_sel:[0,0,1] op_sel_hi:[1,0,0] neg_lo:[0,0,1] neg_hi:[0,0,1]
	v_mul_f16_sdwa v77, v70, s24 dst_sel:DWORD dst_unused:UNUSED_PAD src0_sel:WORD_1 src1_sel:DWORD
	v_bfi_b32 v35, s10, v72, v73
	v_pk_add_f16 v74, v35, v36
	v_fma_f16 v35, v70, s24, v75
	v_add_f16_e32 v76, v35, v34
	ds_read2_b32 v[34:35], v47 offset0:42 offset1:141
	ds_read2_b32 v[36:37], v49 offset0:76 offset1:175
	v_fma_f16 v78, v71, s27, v77
	v_add_f16_e32 v69, v78, v69
	s_waitcnt lgkmcnt(0)
	s_barrier
	v_pk_add_f16 v78, v34, v36 neg_lo:[0,1] neg_hi:[0,1]
	v_pk_add_f16 v80, v36, v34
	v_pk_mul_f16 v79, v78, s27 op_sel_hi:[1,0]
	s_nop 0
	v_pk_fma_f16 v81, v80, s24, v79 op_sel:[0,0,1] op_sel_hi:[1,0,0]
	v_pk_fma_f16 v79, v80, s24, v79 op_sel:[0,0,1] op_sel_hi:[1,0,0] neg_lo:[0,0,1] neg_hi:[0,0,1]
	v_pk_mul_f16 v85, v57, s24 op_sel_hi:[1,0]
	v_bfi_b32 v82, s10, v81, v79
	v_pk_add_f16 v74, v82, v74
	v_mul_f16_sdwa v82, v78, s20 dst_sel:DWORD dst_unused:UNUSED_PAD src0_sel:WORD_1 src1_sel:DWORD
	v_fma_f16 v83, v80, s18, v82
	v_add_f16_e32 v76, v83, v76
	v_mul_f16_sdwa v83, v80, s18 dst_sel:DWORD dst_unused:UNUSED_PAD src0_sel:WORD_1 src1_sel:DWORD
	v_fma_f16 v84, v78, s28, v83
	v_add_f16_e32 v69, v84, v69
	v_pack_b32_f16 v69, v76, v69
	v_mad_u32_u24 v76, v4, 40, v38
	ds_write2_b32 v76, v74, v69 offset0:2 offset1:3
	v_pk_mul_f16 v69, v51, s19 op_sel_hi:[1,0]
	v_alignbit_b32 v84, s0, v16, 16
	v_pk_fma_f16 v74, v52, s21, v69 op_sel:[0,0,1] op_sel_hi:[1,0,0]
	v_pk_fma_f16 v69, v52, s21, v69 op_sel:[0,0,1] op_sel_hi:[1,0,0] neg_lo:[1,0,0] neg_hi:[1,0,0]
	v_pk_fma_f16 v86, v58, s27, v85 op_sel:[0,0,1] op_sel_hi:[1,0,0]
	v_pk_add_f16 v69, v16, v69 op_sel:[1,0] op_sel_hi:[0,1]
	v_pk_fma_f16 v85, v58, s27, v85 op_sel:[0,0,1] op_sel_hi:[1,0,0] neg_lo:[1,0,0] neg_hi:[1,0,0]
	v_pk_add_f16 v84, v84, v74
	v_pk_add_f16 v69, v85, v69
	v_pk_mul_f16 v85, v63, s18 op_sel_hi:[1,0]
	v_alignbit_b32 v74, s0, v74, 16
	v_alignbit_b32 v87, s0, v86, 16
	v_pk_add_f16 v84, v86, v84
	v_pk_fma_f16 v86, v64, s20, v85 op_sel:[0,0,1] op_sel_hi:[1,0,0]
	v_pk_fma_f16 v85, v64, s20, v85 op_sel:[0,0,1] op_sel_hi:[1,0,0] neg_lo:[1,0,0] neg_hi:[1,0,0]
	v_pk_add_f16 v53, v16, v53
	v_fma_f16 v55, v51, s16, -v55
	v_pk_add_f16 v74, v16, v74
	v_pk_add_f16 v69, v85, v69
	v_pk_mul_f16 v85, v70, s14 op_sel_hi:[1,0]
	v_pk_add_f16 v53, v59, v53
	v_add_f16_e32 v55, v16, v55
	v_fma_f16 v59, v57, s19, -v61
	v_fma_f16 v56, v52, s17, v56
	v_pk_add_f16 v74, v87, v74
	v_alignbit_b32 v87, s0, v86, 16
	v_pk_add_f16 v84, v86, v84
	v_pk_fma_f16 v86, v71, s23, v85 op_sel:[0,0,1] op_sel_hi:[1,0,0]
	v_pk_fma_f16 v85, v71, s23, v85 op_sel:[0,0,1] op_sel_hi:[1,0,0] neg_lo:[1,0,0] neg_hi:[1,0,0]
	v_add_f16_e32 v55, v59, v55
	v_add_f16_sdwa v56, v16, v56 dst_sel:DWORD dst_unused:UNUSED_PAD src0_sel:WORD_1 src1_sel:DWORD
	v_fma_f16 v59, v58, s26, v62
	v_pk_add_f16 v69, v85, v69
	v_pk_mul_f16 v85, v80, s16 op_sel_hi:[1,0]
	v_pk_add_f16 v54, v16, v54
	v_add_f16_e32 v56, v59, v56
	v_mul_f16_sdwa v59, v52, s20 dst_sel:DWORD dst_unused:UNUSED_PAD src0_sel:WORD_1 src1_sel:DWORD
	v_pk_add_f16 v74, v87, v74
	v_alignbit_b32 v87, s0, v86, 16
	v_pk_add_f16 v84, v86, v84
	v_pk_fma_f16 v86, v78, s17, v85 op_sel:[0,0,1] op_sel_hi:[1,0,0]
	v_pk_add_f16 v54, v60, v54
	v_fma_f16 v60, v51, s18, v59
	v_mul_f16_sdwa v61, v58, s22 dst_sel:DWORD dst_unused:UNUSED_PAD src0_sel:WORD_1 src1_sel:DWORD
	v_pk_add_f16 v74, v87, v74
	v_alignbit_b32 v87, s0, v86, 16
	v_pk_fma_f16 v85, v78, s17, v85 op_sel:[0,0,1] op_sel_hi:[1,0,0] neg_lo:[1,0,0] neg_hi:[1,0,0]
	v_add_f16_e32 v60, v16, v60
	v_fma_f16 v62, v57, s16, v61
	v_fma_f16 v59, v51, s18, -v59
	v_pk_add_f16 v74, v87, v74
	v_pk_add_f16 v69, v85, v69
	;; [unrolled: 1-line block ×3, first 2 shown]
	v_add_f16_e32 v60, v62, v60
	v_mul_f16_sdwa v62, v51, s18 dst_sel:DWORD dst_unused:UNUSED_PAD src0_sel:WORD_1 src1_sel:DWORD
	v_add_f16_e32 v59, v16, v59
	v_fma_f16 v61, v57, s16, -v61
	v_alignbit_b32 v84, v84, v69, 16
	v_pack_b32_f16 v69, v74, v69
	v_mul_f16_sdwa v74, v57, s16 dst_sel:DWORD dst_unused:UNUSED_PAD src0_sel:WORD_1 src1_sel:DWORD
	v_add_f16_e32 v59, v61, v59
	v_fma_f16 v61, v52, s20, v62
	ds_write2_b32 v76, v69, v84 offset0:5 offset1:6
	v_fma_f16 v69, v52, s28, v62
	v_add_f16_sdwa v61, v16, v61 dst_sel:DWORD dst_unused:UNUSED_PAD src0_sel:WORD_1 src1_sel:DWORD
	v_fma_f16 v62, v58, s22, v74
	v_add_f16_e32 v61, v62, v61
	v_fma_f16 v62, v63, s14, -v67
	v_add_f16_e32 v55, v62, v55
	v_fma_f16 v62, v64, s23, v68
	v_add_f16_e32 v56, v62, v56
	v_mul_f16_sdwa v62, v64, s25 dst_sel:DWORD dst_unused:UNUSED_PAD src0_sel:WORD_1 src1_sel:DWORD
	v_pk_add_f16 v53, v65, v53
	v_fma_f16 v65, v63, s24, v62
	v_add_f16_e32 v60, v65, v60
	v_mul_f16_sdwa v65, v63, s24 dst_sel:DWORD dst_unused:UNUSED_PAD src0_sel:WORD_1 src1_sel:DWORD
	v_fma_f16 v62, v63, s24, -v62
	v_add_f16_e32 v59, v62, v59
	v_fma_f16 v62, v64, s25, v65
	v_add_f16_e32 v61, v62, v61
	v_fma_f16 v62, v70, s24, -v75
	v_add_f16_e32 v55, v62, v55
	v_fma_f16 v62, v71, s25, v77
	v_add_f16_e32 v56, v62, v56
	v_mul_f16_sdwa v62, v71, s21 dst_sel:DWORD dst_unused:UNUSED_PAD src0_sel:WORD_1 src1_sel:DWORD
	v_pk_add_f16 v54, v66, v54
	v_fma_f16 v66, v64, s27, v65
	v_fma_f16 v65, v70, s19, v62
	v_add_f16_e32 v60, v65, v60
	v_mul_f16_sdwa v65, v70, s19 dst_sel:DWORD dst_unused:UNUSED_PAD src0_sel:WORD_1 src1_sel:DWORD
	v_fma_f16 v62, v70, s19, -v62
	v_add_f16_e32 v59, v62, v59
	v_fma_f16 v62, v71, s21, v65
	v_add_f16_e32 v61, v62, v61
	v_fma_f16 v62, v80, s18, -v82
	v_add_f16_e32 v55, v62, v55
	v_fma_f16 v62, v78, s20, v83
	v_add_f16_e32 v56, v62, v56
	v_mul_f16_sdwa v62, v78, s23 dst_sel:DWORD dst_unused:UNUSED_PAD src0_sel:WORD_1 src1_sel:DWORD
	v_fma_f16 v67, v71, s26, v65
	v_fma_f16 v65, v80, s14, v62
	v_add_f16_e32 v60, v65, v60
	v_mul_f16_sdwa v65, v80, s14 dst_sel:DWORD dst_unused:UNUSED_PAD src0_sel:WORD_1 src1_sel:DWORD
	v_fma_f16 v62, v80, s14, -v62
	v_add_f16_e32 v59, v62, v59
	v_fma_f16 v62, v78, s23, v65
	v_add_f16_e32 v61, v62, v61
	v_pk_add_f16 v24, v16, v24
	v_pack_b32_f16 v55, v55, v56
	v_pack_b32_f16 v56, v59, v61
	v_pk_mul_f16 v52, v52, s25 op_sel_hi:[1,0]
	v_pk_add_f16 v24, v24, v26
	ds_write2_b32 v76, v56, v55 offset0:7 offset1:8
	v_pk_fma_f16 v55, v51, s24, v52 op_sel:[0,0,1] op_sel_hi:[1,0,0] neg_lo:[0,0,1] neg_hi:[0,0,1]
	v_pk_fma_f16 v51, v51, s24, v52 op_sel:[0,0,1] op_sel_hi:[1,0,0]
	v_pk_mul_f16 v56, v58, s15 op_sel_hi:[1,0]
	v_pk_add_f16 v24, v24, v28
	v_fma_f16 v84, v58, s17, v74
	v_bfi_b32 v52, s10, v55, v51
	v_pk_fma_f16 v58, v57, s14, v56 op_sel:[0,0,1] op_sel_hi:[1,0,0] neg_lo:[0,0,1] neg_hi:[0,0,1]
	v_pk_fma_f16 v56, v57, s14, v56 op_sel:[0,0,1] op_sel_hi:[1,0,0]
	v_pk_add_f16 v24, v24, v30
	v_add_f16_sdwa v69, v16, v69 dst_sel:DWORD dst_unused:UNUSED_PAD src0_sel:WORD_1 src1_sel:DWORD
	v_pk_add_f16 v52, v16, v52
	v_bfi_b32 v57, s10, v58, v56
	v_pk_add_f16 v24, v24, v34
	v_add_f16_e32 v69, v84, v69
	v_pk_add_f16 v52, v57, v52
	v_pk_mul_f16 v57, v64, s17 op_sel_hi:[1,0]
	v_pk_add_f16 v24, v24, v36
	v_bfi_b32 v26, s10, v51, v55
	v_add_f16_e32 v66, v66, v69
	v_pk_fma_f16 v59, v63, s16, v57 op_sel:[0,0,1] op_sel_hi:[1,0,0] neg_lo:[0,0,1] neg_hi:[0,0,1]
	v_pk_fma_f16 v57, v63, s16, v57 op_sel:[0,0,1] op_sel_hi:[1,0,0]
	v_pk_add_f16 v24, v24, v32
	v_pk_add_f16 v16, v16, v26
	v_bfi_b32 v26, s10, v56, v58
	v_add_f16_e32 v66, v67, v66
	v_fma_f16 v67, v78, s15, v65
	v_pk_add_f16 v22, v24, v22
	v_pk_mul_f16 v24, v71, s20 op_sel_hi:[1,0]
	v_pk_add_f16 v16, v26, v16
	v_bfi_b32 v26, s10, v57, v59
	v_add_f16_e32 v66, v67, v66
	v_pk_add_f16 v16, v26, v16
	v_pk_fma_f16 v26, v70, s18, v24 op_sel:[0,0,1] op_sel_hi:[1,0,0]
	v_pk_fma_f16 v24, v70, s18, v24 op_sel:[0,0,1] op_sel_hi:[1,0,0] neg_lo:[0,0,1] neg_hi:[0,0,1]
	v_pack_b32_f16 v60, v60, v66
	v_bfi_b32 v28, s10, v26, v24
	v_bfi_b32 v24, s10, v24, v26
	v_pk_mul_f16 v26, v78, s21 op_sel_hi:[1,0]
	ds_write_b32 v76, v60 offset:16
	v_bfi_b32 v60, s10, v59, v57
	v_pk_add_f16 v20, v22, v20
	v_pk_fma_f16 v22, v80, s19, v26 op_sel:[0,0,1] op_sel_hi:[1,0,0] neg_lo:[0,0,1] neg_hi:[0,0,1]
	v_pk_fma_f16 v26, v80, s19, v26 op_sel:[0,0,1] op_sel_hi:[1,0,0]
	v_pk_add_f16 v54, v73, v54
	v_pk_add_f16 v53, v72, v53
	;; [unrolled: 1-line block ×4, first 2 shown]
	v_bfi_b32 v28, s10, v26, v22
	v_pk_add_f16 v54, v79, v54
	v_pk_add_f16 v53, v81, v53
	;; [unrolled: 1-line block ×5, first 2 shown]
	v_bfi_b32 v20, s10, v22, v26
	v_pk_add_f16 v20, v20, v24
	ds_write2_b32 v76, v18, v16 offset1:1
	v_bfi_b32 v16, s10, v54, v53
	ds_write2_b32 v76, v16, v20 offset0:9 offset1:10
	s_and_saveexec_b64 s[4:5], vcc
	s_cbranch_execz .LBB0_21
; %bb.20:
	v_pk_add_f16 v20, v19, v25
	v_pk_add_f16 v18, v25, v19 neg_lo:[0,1] neg_hi:[0,1]
	v_pk_add_f16 v24, v21, v27
	v_mul_f16_sdwa v36, v20, s18 dst_sel:DWORD dst_unused:UNUSED_PAD src0_sel:WORD_1 src1_sel:DWORD
	v_pk_add_f16 v22, v27, v21 neg_lo:[0,1] neg_hi:[0,1]
	v_fma_f16 v51, v18, s28, v36
	v_mul_f16_sdwa v52, v24, s16 dst_sel:DWORD dst_unused:UNUSED_PAD src0_sel:WORD_1 src1_sel:DWORD
	v_pk_add_f16 v28, v23, v29
	v_add_f16_sdwa v51, v17, v51 dst_sel:DWORD dst_unused:UNUSED_PAD src0_sel:WORD_1 src1_sel:DWORD
	v_fma_f16 v53, v22, s17, v52
	v_pk_add_f16 v26, v29, v23 neg_lo:[0,1] neg_hi:[0,1]
	v_add_f16_e32 v51, v53, v51
	v_mul_f16_sdwa v53, v28, s24 dst_sel:DWORD dst_unused:UNUSED_PAD src0_sel:WORD_1 src1_sel:DWORD
	v_pk_add_f16 v32, v33, v31
	v_fma_f16 v54, v26, s27, v53
	v_pk_add_f16 v30, v31, v33 neg_lo:[0,1] neg_hi:[0,1]
	v_add_f16_e32 v51, v54, v51
	v_mul_f16_sdwa v54, v32, s19 dst_sel:DWORD dst_unused:UNUSED_PAD src0_sel:WORD_1 src1_sel:DWORD
	v_pk_add_f16 v25, v17, v25
	v_fma_f16 v55, v30, s26, v54
	v_pk_add_f16 v25, v25, v27
	v_fma_f16 v27, v18, s20, v36
	v_add_f16_e32 v51, v55, v51
	v_mul_f16_sdwa v55, v18, s20 dst_sel:DWORD dst_unused:UNUSED_PAD src0_sel:WORD_1 src1_sel:DWORD
	v_pk_add_f16 v25, v25, v29
	v_add_f16_sdwa v27, v17, v27 dst_sel:DWORD dst_unused:UNUSED_PAD src0_sel:WORD_1 src1_sel:DWORD
	v_fma_f16 v29, v22, s22, v52
	v_fma_f16 v56, v20, s18, v55
	v_mul_f16_sdwa v57, v22, s22 dst_sel:DWORD dst_unused:UNUSED_PAD src0_sel:WORD_1 src1_sel:DWORD
	v_mul_f16_sdwa v61, v20, s16 dst_sel:DWORD dst_unused:UNUSED_PAD src0_sel:WORD_1 src1_sel:DWORD
	v_add_f16_e32 v27, v29, v27
	v_fma_f16 v29, v26, s25, v53
	v_add_f16_e32 v56, v17, v56
	v_fma_f16 v58, v24, s16, v57
	v_fma_f16 v62, v18, s22, v61
	v_mul_f16_sdwa v63, v24, s19 dst_sel:DWORD dst_unused:UNUSED_PAD src0_sel:WORD_1 src1_sel:DWORD
	v_add_f16_e32 v27, v29, v27
	v_fma_f16 v29, v30, s21, v54
	v_add_f16_e32 v56, v58, v56
	v_mul_f16_sdwa v58, v26, s25 dst_sel:DWORD dst_unused:UNUSED_PAD src0_sel:WORD_1 src1_sel:DWORD
	v_add_f16_sdwa v62, v17, v62 dst_sel:DWORD dst_unused:UNUSED_PAD src0_sel:WORD_1 src1_sel:DWORD
	v_fma_f16 v64, v22, s21, v63
	v_add_f16_e32 v27, v29, v27
	v_fma_f16 v29, v20, s18, -v55
	v_fma_f16 v59, v28, s24, v58
	v_add_f16_e32 v62, v64, v62
	v_mul_f16_sdwa v64, v28, s14 dst_sel:DWORD dst_unused:UNUSED_PAD src0_sel:WORD_1 src1_sel:DWORD
	v_pk_add_f16 v25, v25, v31
	v_add_f16_e32 v29, v17, v29
	v_fma_f16 v31, v24, s16, -v57
	v_add_f16_e32 v56, v59, v56
	v_mul_f16_sdwa v59, v30, s21 dst_sel:DWORD dst_unused:UNUSED_PAD src0_sel:WORD_1 src1_sel:DWORD
	v_fma_f16 v65, v26, s15, v64
	v_add_f16_e32 v29, v31, v29
	v_fma_f16 v31, v28, s24, -v58
	v_add_f16_e32 v62, v65, v62
	v_mul_f16_sdwa v65, v32, s24 dst_sel:DWORD dst_unused:UNUSED_PAD src0_sel:WORD_1 src1_sel:DWORD
	v_add_f16_e32 v29, v31, v29
	v_fma_f16 v31, v32, s19, -v59
	v_fma_f16 v66, v30, s27, v65
	v_add_f16_e32 v29, v31, v29
	v_fma_f16 v31, v18, s17, v61
	v_add_f16_e32 v62, v66, v62
	v_mul_f16_sdwa v66, v18, s17 dst_sel:DWORD dst_unused:UNUSED_PAD src0_sel:WORD_1 src1_sel:DWORD
	v_add_f16_sdwa v31, v17, v31 dst_sel:DWORD dst_unused:UNUSED_PAD src0_sel:WORD_1 src1_sel:DWORD
	v_fma_f16 v36, v22, s26, v63
	v_fma_f16 v67, v20, s16, v66
	v_mul_f16_sdwa v68, v22, s26 dst_sel:DWORD dst_unused:UNUSED_PAD src0_sel:WORD_1 src1_sel:DWORD
	v_add_f16_e32 v31, v36, v31
	v_fma_f16 v36, v26, s23, v64
	v_add_f16_e32 v67, v17, v67
	v_fma_f16 v69, v24, s19, v68
	v_pk_add_f16 v25, v25, v35
	v_add_f16_e32 v31, v36, v31
	v_fma_f16 v36, v30, s25, v65
	v_add_f16_e32 v67, v69, v67
	v_mul_f16_sdwa v69, v26, s23 dst_sel:DWORD dst_unused:UNUSED_PAD src0_sel:WORD_1 src1_sel:DWORD
	v_pk_add_f16 v25, v25, v37
	v_add_f16_e32 v31, v36, v31
	v_fma_f16 v36, v20, s16, -v66
	v_fma_f16 v70, v28, s14, v69
	v_add_f16_e32 v36, v17, v36
	v_fma_f16 v52, v24, s19, -v68
	v_pk_add_f16 v25, v25, v33
	v_pk_add_f16 v33, v37, v35
	v_pk_add_f16 v34, v35, v37 neg_lo:[0,1] neg_hi:[0,1]
	v_fma_f16 v60, v32, s19, v59
	v_add_f16_e32 v67, v70, v67
	v_mul_f16_sdwa v70, v30, s25 dst_sel:DWORD dst_unused:UNUSED_PAD src0_sel:WORD_1 src1_sel:DWORD
	v_add_f16_e32 v36, v52, v36
	v_fma_f16 v52, v28, s14, -v69
	v_mul_f16_sdwa v35, v33, s14 dst_sel:DWORD dst_unused:UNUSED_PAD src0_sel:WORD_1 src1_sel:DWORD
	v_add_f16_e32 v56, v60, v56
	v_mul_f16_sdwa v60, v34, s23 dst_sel:DWORD dst_unused:UNUSED_PAD src0_sel:WORD_1 src1_sel:DWORD
	v_add_f16_e32 v36, v52, v36
	v_fma_f16 v52, v32, s24, -v70
	v_pk_add_f16 v23, v25, v23
	v_fma_f16 v25, v34, s23, v35
	v_fma_f16 v71, v32, s24, v70
	v_add_f16_e32 v36, v52, v36
	v_mul_f16_sdwa v52, v33, s18 dst_sel:DWORD dst_unused:UNUSED_PAD src0_sel:WORD_1 src1_sel:DWORD
	v_add_f16_e32 v25, v25, v27
	v_fma_f16 v27, v33, s14, -v60
	v_add_f16_e32 v67, v71, v67
	v_mul_f16_sdwa v71, v34, s20 dst_sel:DWORD dst_unused:UNUSED_PAD src0_sel:WORD_1 src1_sel:DWORD
	v_add_f16_e32 v27, v27, v29
	v_fma_f16 v29, v34, s20, v52
	v_fma_f16 v37, v34, s15, v35
	v_add_f16_e32 v29, v29, v31
	v_fma_f16 v31, v33, s18, -v71
	v_pk_mul_f16 v35, v18, s15 op_sel_hi:[1,0]
	v_add_f16_e32 v37, v37, v51
	v_fma_f16 v51, v33, s14, v60
	v_add_f16_e32 v31, v31, v36
	v_pk_fma_f16 v36, v20, s14, v35 op_sel:[0,0,1] op_sel_hi:[1,0,0]
	v_pk_fma_f16 v35, v20, s14, v35 op_sel:[0,0,1] op_sel_hi:[1,0,0] neg_lo:[0,0,1] neg_hi:[0,0,1]
	v_pk_mul_f16 v55, v22, s20 op_sel_hi:[1,0]
	v_add_f16_e32 v51, v51, v56
	v_fma_f16 v53, v34, s28, v52
	v_bfi_b32 v52, s10, v36, v35
	v_pk_fma_f16 v56, v24, s18, v55 op_sel:[0,0,1] op_sel_hi:[1,0,0]
	v_pk_fma_f16 v55, v24, s18, v55 op_sel:[0,0,1] op_sel_hi:[1,0,0] neg_lo:[0,0,1] neg_hi:[0,0,1]
	v_pk_add_f16 v52, v17, v52
	v_bfi_b32 v57, s10, v56, v55
	v_pk_add_f16 v52, v57, v52
	v_pk_mul_f16 v57, v26, s26 op_sel_hi:[1,0]
	v_pk_add_f16 v36, v17, v36
	v_pk_fma_f16 v58, v28, s19, v57 op_sel:[0,0,1] op_sel_hi:[1,0,0]
	v_pk_fma_f16 v57, v28, s19, v57 op_sel:[0,0,1] op_sel_hi:[1,0,0] neg_lo:[0,0,1] neg_hi:[0,0,1]
	v_pk_add_f16 v36, v56, v36
	v_bfi_b32 v59, s10, v58, v57
	v_pk_add_f16 v52, v59, v52
	v_pk_mul_f16 v59, v30, s22 op_sel_hi:[1,0]
	v_pk_add_f16 v35, v17, v35
	v_pk_fma_f16 v60, v32, s16, v59 op_sel:[0,0,1] op_sel_hi:[1,0,0]
	v_pk_fma_f16 v59, v32, s16, v59 op_sel:[0,0,1] op_sel_hi:[1,0,0] neg_lo:[0,0,1] neg_hi:[0,0,1]
	v_mul_u32_u24_e32 v16, 40, v4
	v_bfi_b32 v61, s10, v60, v59
	v_pk_add_f16 v52, v61, v52
	v_pk_mul_f16 v61, v34, s27 op_sel_hi:[1,0]
	v_fma_f16 v54, v33, s18, v71
	v_pk_add_f16 v36, v58, v36
	v_pk_add_f16 v35, v55, v35
	v_pk_fma_f16 v55, v33, s24, v61 op_sel:[0,0,1] op_sel_hi:[1,0,0]
	v_pk_fma_f16 v56, v33, s24, v61 op_sel:[0,0,1] op_sel_hi:[1,0,0] neg_lo:[0,0,1] neg_hi:[0,0,1]
	v_add_f16_e32 v53, v53, v62
	v_add_f16_e32 v54, v54, v67
	v_pk_add_f16 v36, v60, v36
	v_pk_add_f16 v35, v57, v35
	v_bfi_b32 v57, s10, v55, v56
	v_add_u32_e32 v16, v38, v16
	v_pack_b32_f16 v37, v51, v37
	v_pk_add_f16 v52, v57, v52
	v_pk_add_f16 v36, v55, v36
	v_add_u32_e32 v55, 0x110c, v16
	v_pack_b32_f16 v53, v54, v53
	ds_write_b32 v16, v37 offset:4372
	v_pk_mul_f16 v37, v20, s19 op_sel_hi:[1,0]
	ds_write2_b32 v55, v52, v53 offset1:1
	v_pk_fma_f16 v51, v18, s21, v37 op_sel:[0,0,1] op_sel_hi:[1,0,0]
	v_pk_mul_f16 v53, v24, s24 op_sel_hi:[1,0]
	v_pk_fma_f16 v37, v18, s21, v37 op_sel:[0,0,1] op_sel_hi:[1,0,0] neg_lo:[1,0,0] neg_hi:[1,0,0]
	v_pk_fma_f16 v54, v22, s27, v53 op_sel:[0,0,1] op_sel_hi:[1,0,0]
	v_pk_mul_f16 v55, v28, s18 op_sel_hi:[1,0]
	v_pk_add_f16 v37, v17, v37 op_sel:[1,0] op_sel_hi:[0,1]
	v_pk_fma_f16 v53, v22, s27, v53 op_sel:[0,0,1] op_sel_hi:[1,0,0] neg_lo:[1,0,0] neg_hi:[1,0,0]
	v_alignbit_b32 v52, s0, v17, 16
	v_pk_mul_f16 v57, v32, s14 op_sel_hi:[1,0]
	v_pk_add_f16 v37, v53, v37
	v_pk_fma_f16 v53, v26, s20, v55 op_sel:[0,0,1] op_sel_hi:[1,0,0] neg_lo:[1,0,0] neg_hi:[1,0,0]
	v_pk_add_f16 v35, v59, v35
	v_pk_add_f16 v52, v52, v51
	;; [unrolled: 1-line block ×3, first 2 shown]
	v_pk_fma_f16 v53, v30, s23, v57 op_sel:[0,0,1] op_sel_hi:[1,0,0] neg_lo:[1,0,0] neg_hi:[1,0,0]
	v_alignbit_b32 v51, s0, v51, 16
	v_pk_add_f16 v35, v56, v35
	v_pk_fma_f16 v56, v26, s20, v55 op_sel:[0,0,1] op_sel_hi:[1,0,0]
	v_pk_add_f16 v37, v53, v37
	v_pk_add_f16 v51, v17, v51
	v_alignbit_b32 v53, s0, v54, 16
	v_pk_fma_f16 v58, v30, s23, v57 op_sel:[0,0,1] op_sel_hi:[1,0,0]
	v_pk_add_f16 v51, v53, v51
	v_alignbit_b32 v53, s0, v56, 16
	v_pk_add_f16 v51, v53, v51
	v_alignbit_b32 v53, s0, v58, 16
	v_pk_add_f16 v52, v54, v52
	v_pk_add_f16 v51, v53, v51
	v_pk_mul_f16 v53, v33, s16 op_sel_hi:[1,0]
	v_pk_add_f16 v52, v56, v52
	v_pk_fma_f16 v54, v34, s17, v53 op_sel:[0,0,1] op_sel_hi:[1,0,0]
	v_pk_fma_f16 v53, v34, s17, v53 op_sel:[0,0,1] op_sel_hi:[1,0,0] neg_lo:[1,0,0] neg_hi:[1,0,0]
	v_pk_add_f16 v52, v58, v52
	v_pk_add_f16 v37, v53, v37
	v_alignbit_b32 v53, s0, v54, 16
	v_pk_add_f16 v52, v54, v52
	v_pk_add_f16 v51, v53, v51
	v_add_u32_e32 v53, 0x1118, v16
	v_alignbit_b32 v52, v52, v37, 16
	v_pack_b32_f16 v37, v51, v37
	ds_write2_b32 v53, v37, v52 offset1:1
	v_add_u32_e32 v37, 0x1120, v16
	v_pack_b32_f16 v29, v31, v29
	v_pack_b32_f16 v25, v27, v25
	v_pk_mul_f16 v18, v18, s25 op_sel_hi:[1,0]
	ds_write2_b32 v37, v25, v29 offset1:1
	v_pk_mul_f16 v22, v22, s15 op_sel_hi:[1,0]
	v_pk_fma_f16 v29, v20, s24, v18 op_sel:[0,0,1] op_sel_hi:[1,0,0]
	v_pk_fma_f16 v18, v20, s24, v18 op_sel:[0,0,1] op_sel_hi:[1,0,0] neg_lo:[0,0,1] neg_hi:[0,0,1]
	v_pk_mul_f16 v27, v30, s20 op_sel_hi:[1,0]
	v_bfi_b32 v20, s10, v29, v18
	v_pk_fma_f16 v30, v24, s14, v22 op_sel:[0,0,1] op_sel_hi:[1,0,0]
	v_pk_fma_f16 v22, v24, s14, v22 op_sel:[0,0,1] op_sel_hi:[1,0,0] neg_lo:[0,0,1] neg_hi:[0,0,1]
	v_pk_mul_f16 v26, v26, s17 op_sel_hi:[1,0]
	v_pk_add_f16 v20, v17, v20
	v_bfi_b32 v24, s10, v30, v22
	v_pk_add_f16 v20, v24, v20
	v_pk_fma_f16 v24, v28, s16, v26 op_sel:[0,0,1] op_sel_hi:[1,0,0]
	v_pk_fma_f16 v26, v28, s16, v26 op_sel:[0,0,1] op_sel_hi:[1,0,0] neg_lo:[0,0,1] neg_hi:[0,0,1]
	v_bfi_b32 v18, s10, v18, v29
	v_bfi_b32 v28, s10, v24, v26
	v_pk_add_f16 v20, v28, v20
	v_pk_fma_f16 v28, v32, s18, v27 op_sel:[0,0,1] op_sel_hi:[1,0,0]
	v_pk_fma_f16 v27, v32, s18, v27 op_sel:[0,0,1] op_sel_hi:[1,0,0] neg_lo:[0,0,1] neg_hi:[0,0,1]
	v_pk_add_f16 v17, v17, v18
	v_bfi_b32 v18, s10, v22, v30
	v_bfi_b32 v31, s10, v28, v27
	v_pk_add_f16 v17, v18, v17
	v_bfi_b32 v18, s10, v26, v24
	v_pk_add_f16 v20, v31, v20
	v_pk_mul_f16 v31, v34, s21 op_sel_hi:[1,0]
	v_pk_add_f16 v17, v18, v17
	v_bfi_b32 v18, s10, v27, v28
	v_pk_add_f16 v17, v18, v17
	v_pk_add_f16 v18, v23, v21
	v_pk_fma_f16 v21, v33, s19, v31 op_sel:[0,0,1] op_sel_hi:[1,0,0] neg_lo:[0,0,1] neg_hi:[0,0,1]
	v_pk_fma_f16 v22, v33, s19, v31 op_sel:[0,0,1] op_sel_hi:[1,0,0]
	v_add_u32_e32 v25, 0x1128, v16
	v_bfi_b32 v23, s10, v22, v21
	v_pk_add_f16 v20, v23, v20
	v_pk_add_f16 v18, v18, v19
	v_bfi_b32 v19, s10, v21, v22
	v_add_u32_e32 v16, 0x1104, v16
	v_pk_add_f16 v17, v19, v17
	ds_write2_b32 v16, v18, v20 offset1:1
	v_bfi_b32 v16, s10, v35, v36
	ds_write2_b32 v25, v16, v17 offset1:1
.LBB0_21:
	s_or_b64 exec, exec, s[4:5]
	s_movk_i32 s4, 0x75
	v_mul_lo_u16_sdwa v16, v4, s4 dst_sel:DWORD dst_unused:UNUSED_PAD src0_sel:BYTE_0 src1_sel:DWORD
	v_sub_u16_sdwa v17, v4, v16 dst_sel:DWORD dst_unused:UNUSED_PAD src0_sel:DWORD src1_sel:BYTE_1
	v_lshrrev_b16_e32 v17, 1, v17
	v_add_u32_e32 v19, 0x63, v4
	v_and_b32_e32 v17, 0x7f, v17
	v_add_u16_sdwa v16, v17, v16 dst_sel:DWORD dst_unused:UNUSED_PAD src0_sel:DWORD src1_sel:BYTE_1
	v_mul_lo_u16_sdwa v17, v19, s4 dst_sel:DWORD dst_unused:UNUSED_PAD src0_sel:BYTE_0 src1_sel:DWORD
	v_sub_u16_sdwa v18, v19, v17 dst_sel:DWORD dst_unused:UNUSED_PAD src0_sel:DWORD src1_sel:BYTE_1
	v_lshrrev_b16_e32 v18, 1, v18
	v_and_b32_e32 v18, 0x7f, v18
	v_add_u16_sdwa v17, v18, v17 dst_sel:DWORD dst_unused:UNUSED_PAD src0_sel:DWORD src1_sel:BYTE_1
	v_lshrrev_b16_e32 v51, 3, v16
	v_lshrrev_b16_e32 v60, 3, v17
	v_mul_lo_u16_e32 v16, 11, v51
	v_mul_lo_u16_e32 v18, 11, v60
	v_sub_u16_e32 v58, v4, v16
	v_mov_b32_e32 v59, 3
	v_sub_u16_e32 v61, v19, v18
	v_lshlrev_b32_sdwa v16, v59, v58 dst_sel:DWORD dst_unused:UNUSED_PAD src0_sel:DWORD src1_sel:BYTE_0
	v_lshlrev_b32_sdwa v18, v59, v61 dst_sel:DWORD dst_unused:UNUSED_PAD src0_sel:DWORD src1_sel:BYTE_0
	s_mov_b32 s4, 0xba2f
	s_waitcnt lgkmcnt(0)
	s_barrier
	global_load_dwordx2 v[16:17], v16, s[8:9]
	s_movk_i32 s5, 0x3aee
	global_load_dwordx2 v[20:21], v18, s[8:9]
	v_mul_u32_u24_sdwa v18, v0, s4 dst_sel:DWORD dst_unused:UNUSED_PAD src0_sel:WORD_0 src1_sel:DWORD
	v_lshrrev_b32_e32 v62, 19, v18
	v_mul_lo_u16_e32 v18, 11, v62
	v_sub_u16_e32 v63, v0, v18
	v_lshlrev_b32_e32 v18, 3, v63
	global_load_dwordx2 v[22:23], v18, s[8:9]
	v_mul_u32_u24_sdwa v18, v10, s4 dst_sel:DWORD dst_unused:UNUSED_PAD src0_sel:WORD_0 src1_sel:DWORD
	v_lshrrev_b32_e32 v64, 19, v18
	v_mul_lo_u16_e32 v18, 11, v64
	v_sub_u16_e32 v65, v10, v18
	v_lshlrev_b32_e32 v18, 3, v65
	;; [unrolled: 6-line block ×4, first 2 shown]
	global_load_dwordx2 v[28:29], v18, s[8:9]
	ds_read2_b32 v[30:31], v38 offset1:99
	ds_read2_b32 v[32:33], v43 offset0:82 offset1:181
	v_add_u32_e32 v18, 0x1200, v38
	ds_read2_b32 v[34:35], v47 offset0:24 offset1:123
	ds_read2_b32 v[36:37], v46 offset0:106 offset1:205
	;; [unrolled: 1-line block ×4, first 2 shown]
	ds_read_b32 v70, v39
	ds_read_b32 v71, v40
	;; [unrolled: 1-line block ×4, first 2 shown]
	ds_read2_b32 v[56:57], v18 offset0:36 offset1:135
	s_waitcnt lgkmcnt(8)
	v_lshrrev_b32_e32 v77, 16, v34
	s_waitcnt lgkmcnt(7)
	v_lshrrev_b32_e32 v78, 16, v36
	v_lshrrev_b32_e32 v85, 16, v32
	;; [unrolled: 1-line block ×5, first 2 shown]
	s_waitcnt lgkmcnt(6)
	v_lshrrev_b32_e32 v83, 16, v52
	s_waitcnt lgkmcnt(0)
	v_lshrrev_b32_e32 v87, 16, v56
	v_lshrrev_b32_e32 v84, 16, v54
	;; [unrolled: 1-line block ×4, first 2 shown]
	s_mov_b32 s4, 0xbaee
	v_lshrrev_b32_e32 v75, 16, v31
	v_lshrrev_b32_e32 v76, 16, v70
	;; [unrolled: 1-line block ×4, first 2 shown]
	s_barrier
	s_movk_i32 s14, 0x84
	v_lshl_add_u64 v[8:9], v[8:9], 2, s[8:9]
	s_waitcnt vmcnt(5)
	v_mul_f16_sdwa v89, v16, v85 dst_sel:DWORD dst_unused:UNUSED_PAD src0_sel:WORD_1 src1_sel:DWORD
	v_mul_f16_sdwa v90, v16, v32 dst_sel:DWORD dst_unused:UNUSED_PAD src0_sel:WORD_1 src1_sel:DWORD
	s_waitcnt vmcnt(4)
	v_mul_f16_sdwa v93, v20, v86 dst_sel:DWORD dst_unused:UNUSED_PAD src0_sel:WORD_1 src1_sel:DWORD
	v_mul_f16_sdwa v94, v20, v33 dst_sel:DWORD dst_unused:UNUSED_PAD src0_sel:WORD_1 src1_sel:DWORD
	v_fma_f16 v85, v16, v85, -v90
	v_fma_f16 v16, v16, v32, v89
	v_fma_f16 v32, v20, v33, v93
	v_fma_f16 v20, v20, v86, -v94
	s_waitcnt vmcnt(3)
	v_mul_f16_sdwa v86, v77, v22 dst_sel:DWORD dst_unused:UNUSED_PAD src0_sel:DWORD src1_sel:WORD_1
	v_fma_f16 v86, v34, v22, v86
	v_mul_f16_sdwa v34, v34, v22 dst_sel:DWORD dst_unused:UNUSED_PAD src0_sel:DWORD src1_sel:WORD_1
	v_fma_f16 v22, v77, v22, -v34
	v_mul_f16_sdwa v34, v36, v23 dst_sel:DWORD dst_unused:UNUSED_PAD src0_sel:DWORD src1_sel:WORD_1
	v_mul_f16_sdwa v77, v78, v23 dst_sel:DWORD dst_unused:UNUSED_PAD src0_sel:DWORD src1_sel:WORD_1
	v_fma_f16 v34, v78, v23, -v34
	v_fma_f16 v23, v36, v23, v77
	s_waitcnt vmcnt(2)
	v_mul_f16_sdwa v77, v80, v24 dst_sel:DWORD dst_unused:UNUSED_PAD src0_sel:DWORD src1_sel:WORD_1
	v_fma_f16 v77, v35, v24, v77
	v_mul_f16_sdwa v35, v35, v24 dst_sel:DWORD dst_unused:UNUSED_PAD src0_sel:DWORD src1_sel:WORD_1
	v_fma_f16 v24, v80, v24, -v35
	v_mul_f16_sdwa v35, v81, v25 dst_sel:DWORD dst_unused:UNUSED_PAD src0_sel:DWORD src1_sel:WORD_1
	v_fma_f16 v35, v37, v25, v35
	v_mul_f16_sdwa v37, v37, v25 dst_sel:DWORD dst_unused:UNUSED_PAD src0_sel:DWORD src1_sel:WORD_1
	v_fma_f16 v25, v81, v25, -v37
	s_waitcnt vmcnt(1)
	v_mul_f16_sdwa v37, v83, v26 dst_sel:DWORD dst_unused:UNUSED_PAD src0_sel:DWORD src1_sel:WORD_1
	v_mul_f16_sdwa v91, v17, v56 dst_sel:DWORD dst_unused:UNUSED_PAD src0_sel:WORD_1 src1_sel:DWORD
	v_mul_f16_sdwa v92, v17, v87 dst_sel:DWORD dst_unused:UNUSED_PAD src0_sel:WORD_1 src1_sel:DWORD
	v_fma_f16 v37, v52, v26, v37
	v_mul_f16_sdwa v52, v52, v26 dst_sel:DWORD dst_unused:UNUSED_PAD src0_sel:DWORD src1_sel:WORD_1
	v_mul_f16_sdwa v95, v88, v21 dst_sel:DWORD dst_unused:UNUSED_PAD src0_sel:DWORD src1_sel:WORD_1
	v_fma_f16 v87, v17, v87, -v91
	v_fma_f16 v17, v17, v56, v92
	v_mul_f16_sdwa v56, v57, v21 dst_sel:DWORD dst_unused:UNUSED_PAD src0_sel:DWORD src1_sel:WORD_1
	v_fma_f16 v26, v83, v26, -v52
	v_mul_f16_sdwa v52, v84, v27 dst_sel:DWORD dst_unused:UNUSED_PAD src0_sel:DWORD src1_sel:WORD_1
	v_fma_f16 v33, v57, v21, v95
	v_fma_f16 v21, v88, v21, -v56
	v_lshrrev_b32_e32 v56, 16, v53
	v_fma_f16 v52, v54, v27, v52
	v_mul_f16_sdwa v54, v54, v27 dst_sel:DWORD dst_unused:UNUSED_PAD src0_sel:DWORD src1_sel:WORD_1
	v_fma_f16 v27, v84, v27, -v54
	s_waitcnt vmcnt(0)
	v_mul_f16_sdwa v54, v56, v28 dst_sel:DWORD dst_unused:UNUSED_PAD src0_sel:DWORD src1_sel:WORD_1
	v_lshrrev_b32_e32 v36, 16, v55
	v_fma_f16 v54, v53, v28, v54
	v_mul_f16_sdwa v53, v53, v28 dst_sel:DWORD dst_unused:UNUSED_PAD src0_sel:DWORD src1_sel:WORD_1
	v_fma_f16 v28, v56, v28, -v53
	v_mul_f16_sdwa v53, v36, v29 dst_sel:DWORD dst_unused:UNUSED_PAD src0_sel:DWORD src1_sel:WORD_1
	v_fma_f16 v53, v55, v29, v53
	v_mul_f16_sdwa v55, v55, v29 dst_sel:DWORD dst_unused:UNUSED_PAD src0_sel:DWORD src1_sel:WORD_1
	v_fma_f16 v29, v36, v29, -v55
	v_add_f16_e32 v55, v16, v17
	v_add_f16_e32 v36, v30, v16
	v_fma_f16 v30, v55, -0.5, v30
	v_sub_f16_e32 v55, v85, v87
	v_add_f16_e32 v78, v85, v87
	v_fma_f16 v56, v55, s4, v30
	v_fma_f16 v30, v55, s5, v30
	v_add_f16_e32 v55, v74, v85
	v_fma_f16 v74, v78, -0.5, v74
	v_sub_f16_e32 v16, v16, v17
	v_add_f16_e32 v78, v32, v33
	v_add_f16_e32 v36, v36, v17
	v_fma_f16 v17, v16, s5, v74
	v_fma_f16 v16, v16, s4, v74
	v_add_f16_e32 v74, v31, v32
	v_fma_f16 v31, v78, -0.5, v31
	v_sub_f16_e32 v78, v20, v21
	v_fma_f16 v80, v78, s4, v31
	v_fma_f16 v31, v78, s5, v31
	v_add_f16_e32 v78, v75, v20
	v_add_f16_e32 v20, v20, v21
	;; [unrolled: 1-line block ×4, first 2 shown]
	v_fma_f16 v20, v20, -0.5, v75
	v_sub_f16_e32 v21, v32, v33
	v_add_f16_e32 v33, v86, v23
	v_fma_f16 v32, v21, s5, v20
	v_fma_f16 v20, v21, s4, v20
	v_add_f16_e32 v21, v70, v86
	v_fma_f16 v33, v33, -0.5, v70
	v_sub_f16_e32 v70, v22, v34
	v_fma_f16 v75, v70, s4, v33
	v_fma_f16 v33, v70, s5, v33
	v_add_f16_e32 v70, v76, v22
	v_add_f16_e32 v22, v22, v34
	;; [unrolled: 1-line block ×3, first 2 shown]
	v_fma_f16 v22, v22, -0.5, v76
	v_sub_f16_e32 v23, v86, v23
	v_add_f16_e32 v76, v77, v35
	v_add_f16_e32 v70, v70, v34
	v_fma_f16 v34, v23, s5, v22
	v_fma_f16 v22, v23, s4, v22
	v_add_f16_e32 v23, v71, v77
	v_fma_f16 v71, v76, -0.5, v71
	v_sub_f16_e32 v76, v24, v25
	v_fma_f16 v81, v76, s4, v71
	v_fma_f16 v71, v76, s5, v71
	v_add_f16_e32 v76, v79, v24
	v_add_f16_e32 v24, v24, v25
	;; [unrolled: 1-line block ×3, first 2 shown]
	v_fma_f16 v24, v24, -0.5, v79
	v_sub_f16_e32 v25, v77, v35
	v_add_f16_e32 v77, v37, v52
	v_add_f16_e32 v23, v23, v35
	v_fma_f16 v35, v25, s5, v24
	v_fma_f16 v24, v25, s4, v24
	v_add_f16_e32 v25, v72, v37
	v_fma_f16 v72, v77, -0.5, v72
	v_sub_f16_e32 v77, v26, v27
	v_fma_f16 v79, v77, s4, v72
	v_fma_f16 v72, v77, s5, v72
	v_add_f16_e32 v77, v82, v26
	v_add_f16_e32 v26, v26, v27
	;; [unrolled: 1-line block ×4, first 2 shown]
	v_fma_f16 v26, v26, -0.5, v82
	v_sub_f16_e32 v27, v37, v52
	v_add_f16_e32 v52, v54, v53
	v_lshrrev_b32_e32 v57, 16, v73
	v_fma_f16 v37, v27, s5, v26
	v_fma_f16 v26, v27, s4, v26
	v_add_f16_e32 v27, v73, v54
	v_fma_f16 v52, v52, -0.5, v73
	v_sub_f16_e32 v73, v28, v29
	v_fma_f16 v82, v73, s4, v52
	v_fma_f16 v52, v73, s5, v52
	v_add_f16_e32 v73, v57, v28
	v_add_f16_e32 v28, v28, v29
	v_add_f16_e32 v73, v73, v29
	v_fma_f16 v28, v28, -0.5, v57
	v_sub_f16_e32 v29, v54, v53
	v_add_f16_e32 v27, v27, v53
	v_fma_f16 v53, v29, s5, v28
	v_fma_f16 v28, v29, s4, v28
	v_mul_u32_u24_e32 v29, 0x84, v51
	v_mov_b32_e32 v51, 2
	v_add_f16_e32 v55, v55, v87
	v_lshlrev_b32_sdwa v54, v51, v58 dst_sel:DWORD dst_unused:UNUSED_PAD src0_sel:DWORD src1_sel:BYTE_0
	v_add3_u32 v29, 0, v29, v54
	v_pack_b32_f16 v36, v36, v55
	v_pack_b32_f16 v17, v56, v17
	;; [unrolled: 1-line block ×3, first 2 shown]
	ds_write2_b32 v29, v36, v17 offset1:11
	ds_write_b32 v29, v16 offset:88
	v_mul_u32_u24_e32 v16, 0x84, v60
	v_lshlrev_b32_sdwa v17, v51, v61 dst_sel:DWORD dst_unused:UNUSED_PAD src0_sel:DWORD src1_sel:BYTE_0
	v_add3_u32 v16, 0, v16, v17
	v_pack_b32_f16 v17, v74, v78
	v_pack_b32_f16 v29, v80, v32
	ds_write2_b32 v16, v17, v29 offset1:11
	v_pack_b32_f16 v17, v31, v20
	ds_write_b32 v16, v17 offset:88
	v_perm_b32 v16, v64, v62, s12
	v_pk_mul_lo_u16 v16, v16, s14 op_sel_hi:[1,0]
	v_lshlrev_b32_e32 v20, 2, v63
	v_and_b32_e32 v17, 0xfffc, v16
	v_add3_u32 v17, 0, v17, v20
	v_pack_b32_f16 v20, v21, v70
	v_pack_b32_f16 v21, v75, v34
	ds_write2_b32 v17, v20, v21 offset1:11
	v_pack_b32_f16 v20, v33, v22
	ds_write_b32 v17, v20 offset:88
	v_lshrrev_b32_e32 v16, 16, v16
	v_lshlrev_b32_e32 v17, 2, v65
	v_add3_u32 v16, 0, v16, v17
	v_pack_b32_f16 v17, v23, v76
	v_pack_b32_f16 v20, v81, v35
	ds_write2_b32 v16, v17, v20 offset1:11
	v_pack_b32_f16 v17, v71, v24
	ds_write_b32 v16, v17 offset:88
	v_perm_b32 v16, v68, v66, s12
	v_pk_mul_lo_u16 v16, v16, s14 op_sel_hi:[1,0]
	v_lshlrev_b32_e32 v20, 2, v67
	v_and_b32_e32 v17, 0xfffc, v16
	v_add3_u32 v17, 0, v17, v20
	v_pack_b32_f16 v20, v25, v77
	v_pack_b32_f16 v21, v79, v37
	ds_write2_b32 v17, v20, v21 offset1:11
	v_pack_b32_f16 v20, v72, v26
	ds_write_b32 v17, v20 offset:88
	v_lshrrev_b32_e32 v16, 16, v16
	v_lshlrev_b32_e32 v17, 2, v69
	v_add3_u32 v16, 0, v16, v17
	v_pack_b32_f16 v17, v27, v73
	v_pack_b32_f16 v20, v82, v53
	ds_write2_b32 v16, v17, v20 offset1:11
	v_pack_b32_f16 v17, v52, v28
	s_movk_i32 s14, 0xf9
	ds_write_b32 v16, v17 offset:88
	v_mul_lo_u16_sdwa v16, v4, s14 dst_sel:DWORD dst_unused:UNUSED_PAD src0_sel:BYTE_0 src1_sel:DWORD
	v_lshrrev_b16_e32 v58, 13, v16
	v_mul_lo_u16_e32 v16, 33, v58
	v_sub_u16_e32 v60, v4, v16
	v_lshlrev_b32_sdwa v16, v59, v60 dst_sel:DWORD dst_unused:UNUSED_PAD src0_sel:DWORD src1_sel:BYTE_0
	s_waitcnt lgkmcnt(0)
	s_barrier
	global_load_dwordx2 v[16:17], v16, s[8:9] offset:88
	v_mul_lo_u16_sdwa v20, v19, s14 dst_sel:DWORD dst_unused:UNUSED_PAD src0_sel:BYTE_0 src1_sel:DWORD
	v_lshrrev_b16_e32 v61, 13, v20
	v_mul_lo_u16_e32 v20, 33, v61
	v_sub_u16_e32 v62, v19, v20
	v_lshlrev_b32_sdwa v20, v59, v62 dst_sel:DWORD dst_unused:UNUSED_PAD src0_sel:DWORD src1_sel:BYTE_0
	global_load_dwordx2 v[20:21], v20, s[8:9] offset:88
	s_mov_b32 s14, 0xf83f
	v_mul_u32_u24_sdwa v22, v0, s14 dst_sel:DWORD dst_unused:UNUSED_PAD src0_sel:WORD_0 src1_sel:DWORD
	v_lshrrev_b32_e32 v59, 21, v22
	v_mul_lo_u16_e32 v22, 33, v59
	v_sub_u16_e32 v63, v0, v22
	v_mul_u32_u24_sdwa v24, v10, s14 dst_sel:DWORD dst_unused:UNUSED_PAD src0_sel:WORD_0 src1_sel:DWORD
	v_lshlrev_b32_e32 v22, 3, v63
	global_load_dwordx2 v[22:23], v22, s[8:9] offset:88
	v_lshrrev_b32_e32 v64, 21, v24
	v_mul_lo_u16_e32 v24, 33, v64
	v_sub_u16_e32 v65, v10, v24
	v_lshlrev_b32_e32 v24, 3, v65
	global_load_dwordx2 v[24:25], v24, s[8:9] offset:88
	v_mul_u32_u24_sdwa v26, v12, s14 dst_sel:DWORD dst_unused:UNUSED_PAD src0_sel:WORD_0 src1_sel:DWORD
	v_lshrrev_b32_e32 v66, 21, v26
	v_mul_lo_u16_e32 v26, 33, v66
	v_sub_u16_e32 v67, v12, v26
	v_lshlrev_b32_e32 v26, 3, v67
	v_mul_u32_u24_sdwa v28, v14, s14 dst_sel:DWORD dst_unused:UNUSED_PAD src0_sel:WORD_0 src1_sel:DWORD
	global_load_dwordx2 v[26:27], v26, s[8:9] offset:88
	v_lshrrev_b32_e32 v68, 21, v28
	v_mul_lo_u16_e32 v28, 33, v68
	v_sub_u16_e32 v69, v14, v28
	v_lshlrev_b32_e32 v28, 3, v69
	global_load_dwordx2 v[28:29], v28, s[8:9] offset:88
	ds_read2_b32 v[30:31], v38 offset1:99
	ds_read2_b32 v[32:33], v43 offset0:82 offset1:181
	ds_read2_b32 v[34:35], v18 offset0:36 offset1:135
	;; [unrolled: 1-line block ×3, first 2 shown]
	ds_read_b32 v72, v39
	ds_read2_b32 v[52:53], v46 offset0:106 offset1:205
	ds_read_b32 v73, v40
	ds_read_b32 v74, v41
	;; [unrolled: 1-line block ×3, first 2 shown]
	s_waitcnt lgkmcnt(5)
	v_lshrrev_b32_e32 v77, 16, v36
	s_waitcnt lgkmcnt(3)
	v_lshrrev_b32_e32 v78, 16, v52
	v_lshrrev_b32_e32 v85, 16, v32
	ds_read2_b32 v[54:55], v49 offset0:94 offset1:193
	ds_read2_b32 v[56:57], v45 offset0:48 offset1:147
	v_lshrrev_b32_e32 v80, 16, v37
	v_lshrrev_b32_e32 v81, 16, v53
	;; [unrolled: 1-line block ×3, first 2 shown]
	s_waitcnt lgkmcnt(1)
	v_lshrrev_b32_e32 v83, 16, v54
	s_waitcnt lgkmcnt(0)
	v_lshrrev_b32_e32 v84, 16, v56
	v_lshrrev_b32_e32 v71, 16, v31
	;; [unrolled: 1-line block ×6, first 2 shown]
	s_barrier
	s_waitcnt vmcnt(5)
	v_mul_f16_sdwa v86, v16, v85 dst_sel:DWORD dst_unused:UNUSED_PAD src0_sel:WORD_1 src1_sel:DWORD
	v_fma_f16 v86, v16, v32, v86
	v_mul_f16_sdwa v32, v16, v32 dst_sel:DWORD dst_unused:UNUSED_PAD src0_sel:WORD_1 src1_sel:DWORD
	v_fma_f16 v16, v16, v85, -v32
	v_lshrrev_b32_e32 v32, 16, v34
	v_mul_f16_sdwa v85, v17, v34 dst_sel:DWORD dst_unused:UNUSED_PAD src0_sel:WORD_1 src1_sel:DWORD
	v_fma_f16 v85, v17, v32, -v85
	v_mul_f16_sdwa v32, v17, v32 dst_sel:DWORD dst_unused:UNUSED_PAD src0_sel:WORD_1 src1_sel:DWORD
	v_fma_f16 v17, v17, v34, v32
	v_lshrrev_b32_e32 v32, 16, v33
	s_waitcnt vmcnt(4)
	v_mul_f16_sdwa v34, v20, v32 dst_sel:DWORD dst_unused:UNUSED_PAD src0_sel:WORD_1 src1_sel:DWORD
	v_fma_f16 v34, v20, v33, v34
	v_mul_f16_sdwa v33, v20, v33 dst_sel:DWORD dst_unused:UNUSED_PAD src0_sel:WORD_1 src1_sel:DWORD
	v_fma_f16 v20, v20, v32, -v33
	v_lshrrev_b32_e32 v32, 16, v35
	v_mul_f16_sdwa v33, v21, v32 dst_sel:DWORD dst_unused:UNUSED_PAD src0_sel:WORD_1 src1_sel:DWORD
	v_fma_f16 v33, v21, v35, v33
	v_mul_f16_sdwa v35, v21, v35 dst_sel:DWORD dst_unused:UNUSED_PAD src0_sel:WORD_1 src1_sel:DWORD
	v_fma_f16 v21, v21, v32, -v35
	s_waitcnt vmcnt(3)
	v_mul_f16_sdwa v35, v77, v22 dst_sel:DWORD dst_unused:UNUSED_PAD src0_sel:DWORD src1_sel:WORD_1
	v_fma_f16 v35, v36, v22, v35
	v_mul_f16_sdwa v36, v36, v22 dst_sel:DWORD dst_unused:UNUSED_PAD src0_sel:DWORD src1_sel:WORD_1
	v_fma_f16 v22, v77, v22, -v36
	v_mul_f16_sdwa v36, v52, v23 dst_sel:DWORD dst_unused:UNUSED_PAD src0_sel:DWORD src1_sel:WORD_1
	v_mul_f16_sdwa v77, v78, v23 dst_sel:DWORD dst_unused:UNUSED_PAD src0_sel:DWORD src1_sel:WORD_1
	v_fma_f16 v36, v78, v23, -v36
	v_fma_f16 v23, v52, v23, v77
	s_waitcnt vmcnt(2)
	v_mul_f16_sdwa v77, v80, v24 dst_sel:DWORD dst_unused:UNUSED_PAD src0_sel:DWORD src1_sel:WORD_1
	v_fma_f16 v77, v37, v24, v77
	v_mul_f16_sdwa v37, v37, v24 dst_sel:DWORD dst_unused:UNUSED_PAD src0_sel:DWORD src1_sel:WORD_1
	v_fma_f16 v24, v80, v24, -v37
	v_mul_f16_sdwa v37, v81, v25 dst_sel:DWORD dst_unused:UNUSED_PAD src0_sel:DWORD src1_sel:WORD_1
	v_fma_f16 v37, v53, v25, v37
	v_mul_f16_sdwa v53, v53, v25 dst_sel:DWORD dst_unused:UNUSED_PAD src0_sel:DWORD src1_sel:WORD_1
	v_fma_f16 v25, v81, v25, -v53
	s_waitcnt vmcnt(1)
	v_mul_f16_sdwa v53, v83, v26 dst_sel:DWORD dst_unused:UNUSED_PAD src0_sel:DWORD src1_sel:WORD_1
	v_fma_f16 v53, v54, v26, v53
	v_mul_f16_sdwa v54, v54, v26 dst_sel:DWORD dst_unused:UNUSED_PAD src0_sel:DWORD src1_sel:WORD_1
	v_fma_f16 v26, v83, v26, -v54
	v_mul_f16_sdwa v54, v84, v27 dst_sel:DWORD dst_unused:UNUSED_PAD src0_sel:DWORD src1_sel:WORD_1
	v_lshrrev_b32_e32 v32, 16, v55
	v_fma_f16 v54, v56, v27, v54
	v_mul_f16_sdwa v56, v56, v27 dst_sel:DWORD dst_unused:UNUSED_PAD src0_sel:DWORD src1_sel:WORD_1
	v_fma_f16 v27, v84, v27, -v56
	s_waitcnt vmcnt(0)
	v_mul_f16_sdwa v56, v32, v28 dst_sel:DWORD dst_unused:UNUSED_PAD src0_sel:DWORD src1_sel:WORD_1
	v_lshrrev_b32_e32 v52, 16, v57
	v_fma_f16 v56, v55, v28, v56
	v_mul_f16_sdwa v55, v55, v28 dst_sel:DWORD dst_unused:UNUSED_PAD src0_sel:DWORD src1_sel:WORD_1
	v_fma_f16 v28, v32, v28, -v55
	v_mul_f16_sdwa v32, v52, v29 dst_sel:DWORD dst_unused:UNUSED_PAD src0_sel:DWORD src1_sel:WORD_1
	v_mul_f16_sdwa v55, v57, v29 dst_sel:DWORD dst_unused:UNUSED_PAD src0_sel:DWORD src1_sel:WORD_1
	v_fma_f16 v32, v57, v29, v32
	v_fma_f16 v29, v52, v29, -v55
	v_add_f16_e32 v55, v86, v17
	v_add_f16_e32 v52, v30, v86
	v_fma_f16 v30, v55, -0.5, v30
	v_sub_f16_e32 v55, v16, v85
	v_fma_f16 v57, v55, s4, v30
	v_fma_f16 v30, v55, s5, v30
	v_add_f16_e32 v55, v70, v16
	v_add_f16_e32 v16, v16, v85
	;; [unrolled: 1-line block ×3, first 2 shown]
	v_fma_f16 v16, v16, -0.5, v70
	v_sub_f16_e32 v17, v86, v17
	v_add_f16_e32 v78, v34, v33
	v_fma_f16 v70, v17, s5, v16
	v_fma_f16 v16, v17, s4, v16
	v_add_f16_e32 v17, v31, v34
	v_fma_f16 v31, v78, -0.5, v31
	v_sub_f16_e32 v78, v20, v21
	v_fma_f16 v80, v78, s4, v31
	v_fma_f16 v31, v78, s5, v31
	v_add_f16_e32 v78, v71, v20
	v_add_f16_e32 v78, v78, v21
	;; [unrolled: 1-line block ×3, first 2 shown]
	v_sub_f16_e32 v21, v34, v33
	v_add_f16_e32 v34, v35, v23
	v_fma_f16 v20, v20, -0.5, v71
	v_fma_f16 v34, v34, -0.5, v72
	v_sub_f16_e32 v71, v22, v36
	v_add_f16_e32 v17, v17, v33
	v_fma_f16 v33, v21, s5, v20
	v_fma_f16 v20, v21, s4, v20
	v_add_f16_e32 v21, v72, v35
	v_fma_f16 v72, v71, s4, v34
	v_fma_f16 v34, v71, s5, v34
	v_add_f16_e32 v71, v76, v22
	v_add_f16_e32 v22, v22, v36
	;; [unrolled: 1-line block ×4, first 2 shown]
	v_fma_f16 v22, v22, -0.5, v76
	v_sub_f16_e32 v23, v35, v23
	v_add_f16_e32 v36, v77, v37
	v_fma_f16 v35, v23, s5, v22
	v_fma_f16 v22, v23, s4, v22
	v_add_f16_e32 v23, v73, v77
	v_fma_f16 v36, v36, -0.5, v73
	v_sub_f16_e32 v73, v24, v25
	v_fma_f16 v76, v73, s4, v36
	v_fma_f16 v36, v73, s5, v36
	v_add_f16_e32 v73, v79, v24
	v_add_f16_e32 v24, v24, v25
	;; [unrolled: 1-line block ×3, first 2 shown]
	v_fma_f16 v24, v24, -0.5, v79
	v_sub_f16_e32 v25, v77, v37
	v_add_f16_e32 v77, v53, v54
	v_add_f16_e32 v23, v23, v37
	v_fma_f16 v37, v25, s5, v24
	v_fma_f16 v24, v25, s4, v24
	v_add_f16_e32 v25, v74, v53
	v_fma_f16 v74, v77, -0.5, v74
	v_sub_f16_e32 v77, v26, v27
	v_fma_f16 v79, v77, s4, v74
	v_fma_f16 v74, v77, s5, v74
	v_add_f16_e32 v77, v82, v26
	v_add_f16_e32 v26, v26, v27
	;; [unrolled: 1-line block ×4, first 2 shown]
	v_fma_f16 v26, v26, -0.5, v82
	v_sub_f16_e32 v27, v53, v54
	v_add_f16_e32 v54, v56, v32
	v_fma_f16 v53, v27, s5, v26
	v_fma_f16 v26, v27, s4, v26
	v_add_f16_e32 v27, v75, v56
	v_fma_f16 v54, v54, -0.5, v75
	v_sub_f16_e32 v75, v28, v29
	v_fma_f16 v81, v75, s4, v54
	v_fma_f16 v54, v75, s5, v54
	v_add_f16_e32 v75, v87, v28
	v_add_f16_e32 v28, v28, v29
	v_add_f16_e32 v75, v75, v29
	v_fma_f16 v28, v28, -0.5, v87
	v_sub_f16_e32 v29, v56, v32
	v_add_f16_e32 v55, v55, v85
	v_add_f16_e32 v27, v27, v32
	v_fma_f16 v32, v29, s5, v28
	v_fma_f16 v28, v29, s4, v28
	v_mul_u32_u24_e32 v29, 0x18c, v58
	v_lshlrev_b32_sdwa v56, v51, v60 dst_sel:DWORD dst_unused:UNUSED_PAD src0_sel:DWORD src1_sel:BYTE_0
	v_add3_u32 v29, 0, v29, v56
	v_pack_b32_f16 v52, v52, v55
	v_pack_b32_f16 v55, v57, v70
	;; [unrolled: 1-line block ×3, first 2 shown]
	ds_write2_b32 v29, v52, v55 offset1:33
	ds_write_b32 v29, v16 offset:264
	v_mul_u32_u24_e32 v16, 0x18c, v61
	v_lshlrev_b32_sdwa v29, v51, v62 dst_sel:DWORD dst_unused:UNUSED_PAD src0_sel:DWORD src1_sel:BYTE_0
	v_add3_u32 v16, 0, v16, v29
	v_pack_b32_f16 v17, v17, v78
	v_pack_b32_f16 v29, v80, v33
	ds_write2_b32 v16, v17, v29 offset1:33
	v_pack_b32_f16 v17, v31, v20
	ds_write_b32 v16, v17 offset:264
	v_perm_b32 v16, v64, v59, s12
	v_pk_mul_lo_u16 v16, v16, s13 op_sel_hi:[1,0]
	v_lshlrev_b32_e32 v20, 2, v63
	v_and_b32_e32 v17, 0xfffc, v16
	v_add3_u32 v17, 0, v17, v20
	v_pack_b32_f16 v20, v21, v71
	v_pack_b32_f16 v21, v72, v35
	ds_write2_b32 v17, v20, v21 offset1:33
	v_pack_b32_f16 v20, v34, v22
	ds_write_b32 v17, v20 offset:264
	v_lshrrev_b32_e32 v16, 16, v16
	v_lshlrev_b32_e32 v17, 2, v65
	v_add3_u32 v16, 0, v16, v17
	v_pack_b32_f16 v17, v23, v73
	v_pack_b32_f16 v20, v76, v37
	ds_write2_b32 v16, v17, v20 offset1:33
	v_pack_b32_f16 v17, v36, v24
	ds_write_b32 v16, v17 offset:264
	v_perm_b32 v16, v68, v66, s12
	v_pk_mul_lo_u16 v16, v16, s13 op_sel_hi:[1,0]
	v_lshlrev_b32_e32 v20, 2, v67
	v_and_b32_e32 v17, 0xfffc, v16
	v_add3_u32 v17, 0, v17, v20
	v_pack_b32_f16 v20, v25, v77
	v_pack_b32_f16 v21, v79, v53
	ds_write2_b32 v17, v20, v21 offset1:33
	v_pack_b32_f16 v20, v74, v26
	ds_write_b32 v17, v20 offset:264
	v_lshrrev_b32_e32 v16, 16, v16
	v_lshlrev_b32_e32 v17, 2, v69
	v_add3_u32 v16, 0, v16, v17
	v_pack_b32_f16 v17, v27, v75
	v_pack_b32_f16 v20, v81, v32
	ds_write2_b32 v16, v17, v20 offset1:33
	v_pack_b32_f16 v17, v54, v28
	ds_write_b32 v16, v17 offset:264
	v_lshlrev_b32_e32 v16, 1, v4
	v_mov_b32_e32 v17, v5
	v_lshl_add_u64 v[16:17], v[16:17], 2, s[8:9]
	s_waitcnt lgkmcnt(0)
	s_barrier
	global_load_dwordx2 v[20:21], v[16:17], off offset:352
	s_mov_b32 s12, 0xa57f
	v_mul_u32_u24_sdwa v22, v0, s12 dst_sel:DWORD dst_unused:UNUSED_PAD src0_sel:WORD_0 src1_sel:DWORD
	v_lshrrev_b32_e32 v22, 22, v22
	v_mul_lo_u16_e32 v22, 0x63, v22
	v_mul_u32_u24_sdwa v24, v10, s12 dst_sel:DWORD dst_unused:UNUSED_PAD src0_sel:WORD_0 src1_sel:DWORD
	v_sub_u16_e32 v51, v0, v22
	v_lshrrev_b32_e32 v24, 22, v24
	v_lshlrev_b32_e32 v22, 3, v51
	v_mul_lo_u16_e32 v24, 0x63, v24
	global_load_dwordx2 v[22:23], v22, s[8:9] offset:352
	v_sub_u16_e32 v58, v10, v24
	v_mul_u32_u24_sdwa v26, v12, s12 dst_sel:DWORD dst_unused:UNUSED_PAD src0_sel:WORD_0 src1_sel:DWORD
	v_lshlrev_b32_e32 v24, 3, v58
	global_load_dwordx2 v[24:25], v24, s[8:9] offset:352
	v_lshrrev_b32_e32 v26, 22, v26
	v_mul_lo_u16_e32 v26, 0x63, v26
	v_mul_u32_u24_sdwa v28, v14, s12 dst_sel:DWORD dst_unused:UNUSED_PAD src0_sel:WORD_0 src1_sel:DWORD
	v_sub_u16_e32 v59, v12, v26
	v_lshrrev_b32_e32 v28, 22, v28
	v_lshlrev_b32_e32 v26, 3, v59
	global_load_dwordx2 v[26:27], v26, s[8:9] offset:352
	v_mul_lo_u16_e32 v28, 0x63, v28
	v_sub_u16_e32 v60, v14, v28
	v_lshlrev_b32_e32 v28, 3, v60
	global_load_dwordx2 v[28:29], v28, s[8:9] offset:352
	ds_read2_b32 v[30:31], v38 offset1:99
	ds_read2_b32 v[32:33], v43 offset0:82 offset1:181
	ds_read2_b32 v[34:35], v18 offset0:36 offset1:135
	;; [unrolled: 1-line block ×3, first 2 shown]
	ds_read_b32 v63, v39
	ds_read2_b32 v[52:53], v46 offset0:106 offset1:205
	ds_read_b32 v64, v40
	ds_read_b32 v65, v41
	ds_read_b32 v66, v42
	s_waitcnt lgkmcnt(5)
	v_lshrrev_b32_e32 v68, 16, v36
	s_waitcnt lgkmcnt(3)
	v_lshrrev_b32_e32 v69, 16, v52
	v_lshrrev_b32_e32 v79, 16, v32
	ds_read2_b32 v[54:55], v49 offset0:94 offset1:193
	ds_read2_b32 v[56:57], v45 offset0:48 offset1:147
	v_lshrrev_b32_e32 v71, 16, v37
	v_lshrrev_b32_e32 v72, 16, v53
	;; [unrolled: 1-line block ×3, first 2 shown]
	s_waitcnt lgkmcnt(1)
	v_lshrrev_b32_e32 v74, 16, v54
	s_waitcnt lgkmcnt(0)
	v_lshrrev_b32_e32 v75, 16, v56
	v_lshrrev_b32_e32 v77, 16, v55
	;; [unrolled: 1-line block ×8, first 2 shown]
	s_barrier
	s_waitcnt vmcnt(4)
	v_mul_f16_sdwa v80, v20, v79 dst_sel:DWORD dst_unused:UNUSED_PAD src0_sel:WORD_1 src1_sel:DWORD
	v_fma_f16 v80, v20, v32, v80
	v_mul_f16_sdwa v32, v20, v32 dst_sel:DWORD dst_unused:UNUSED_PAD src0_sel:WORD_1 src1_sel:DWORD
	v_fma_f16 v32, v20, v79, -v32
	v_lshrrev_b32_e32 v79, 16, v34
	v_mul_f16_sdwa v81, v21, v79 dst_sel:DWORD dst_unused:UNUSED_PAD src0_sel:WORD_1 src1_sel:DWORD
	v_fma_f16 v81, v21, v34, v81
	v_mul_f16_sdwa v34, v21, v34 dst_sel:DWORD dst_unused:UNUSED_PAD src0_sel:WORD_1 src1_sel:DWORD
	v_fma_f16 v34, v21, v79, -v34
	v_lshrrev_b32_e32 v79, 16, v33
	;; [unrolled: 5-line block ×3, first 2 shown]
	v_mul_f16_sdwa v79, v21, v33 dst_sel:DWORD dst_unused:UNUSED_PAD src0_sel:WORD_1 src1_sel:DWORD
	v_fma_f16 v79, v21, v35, v79
	v_mul_f16_sdwa v35, v21, v35 dst_sel:DWORD dst_unused:UNUSED_PAD src0_sel:WORD_1 src1_sel:DWORD
	v_fma_f16 v21, v21, v33, -v35
	s_waitcnt vmcnt(3)
	v_mul_f16_sdwa v33, v68, v22 dst_sel:DWORD dst_unused:UNUSED_PAD src0_sel:DWORD src1_sel:WORD_1
	v_mul_f16_sdwa v35, v36, v22 dst_sel:DWORD dst_unused:UNUSED_PAD src0_sel:DWORD src1_sel:WORD_1
	v_fma_f16 v33, v36, v22, v33
	v_fma_f16 v22, v68, v22, -v35
	v_mul_f16_sdwa v35, v69, v23 dst_sel:DWORD dst_unused:UNUSED_PAD src0_sel:DWORD src1_sel:WORD_1
	v_mul_f16_sdwa v36, v52, v23 dst_sel:DWORD dst_unused:UNUSED_PAD src0_sel:DWORD src1_sel:WORD_1
	v_fma_f16 v35, v52, v23, v35
	v_fma_f16 v23, v69, v23, -v36
	s_waitcnt vmcnt(2)
	v_mul_f16_sdwa v36, v71, v24 dst_sel:DWORD dst_unused:UNUSED_PAD src0_sel:DWORD src1_sel:WORD_1
	v_fma_f16 v36, v37, v24, v36
	v_mul_f16_sdwa v37, v37, v24 dst_sel:DWORD dst_unused:UNUSED_PAD src0_sel:DWORD src1_sel:WORD_1
	v_fma_f16 v24, v71, v24, -v37
	v_mul_f16_sdwa v37, v72, v25 dst_sel:DWORD dst_unused:UNUSED_PAD src0_sel:DWORD src1_sel:WORD_1
	v_mul_f16_sdwa v52, v53, v25 dst_sel:DWORD dst_unused:UNUSED_PAD src0_sel:DWORD src1_sel:WORD_1
	v_fma_f16 v37, v53, v25, v37
	v_fma_f16 v25, v72, v25, -v52
	s_waitcnt vmcnt(1)
	v_mul_f16_sdwa v52, v74, v26 dst_sel:DWORD dst_unused:UNUSED_PAD src0_sel:DWORD src1_sel:WORD_1
	v_mul_f16_sdwa v53, v54, v26 dst_sel:DWORD dst_unused:UNUSED_PAD src0_sel:DWORD src1_sel:WORD_1
	v_fma_f16 v52, v54, v26, v52
	v_fma_f16 v26, v74, v26, -v53
	v_mul_f16_sdwa v53, v75, v27 dst_sel:DWORD dst_unused:UNUSED_PAD src0_sel:DWORD src1_sel:WORD_1
	v_mul_f16_sdwa v54, v56, v27 dst_sel:DWORD dst_unused:UNUSED_PAD src0_sel:DWORD src1_sel:WORD_1
	v_fma_f16 v53, v56, v27, v53
	v_fma_f16 v27, v75, v27, -v54
	s_waitcnt vmcnt(0)
	v_mul_f16_sdwa v54, v77, v28 dst_sel:DWORD dst_unused:UNUSED_PAD src0_sel:DWORD src1_sel:WORD_1
	v_fma_f16 v54, v55, v28, v54
	v_mul_f16_sdwa v55, v55, v28 dst_sel:DWORD dst_unused:UNUSED_PAD src0_sel:DWORD src1_sel:WORD_1
	v_fma_f16 v28, v77, v28, -v55
	v_mul_f16_sdwa v55, v78, v29 dst_sel:DWORD dst_unused:UNUSED_PAD src0_sel:DWORD src1_sel:WORD_1
	v_fma_f16 v55, v57, v29, v55
	v_mul_f16_sdwa v56, v57, v29 dst_sel:DWORD dst_unused:UNUSED_PAD src0_sel:DWORD src1_sel:WORD_1
	v_add_f16_e32 v57, v80, v81
	v_fma_f16 v29, v78, v29, -v56
	v_add_f16_e32 v56, v30, v80
	v_fma_f16 v30, v57, -0.5, v30
	v_sub_f16_e32 v57, v32, v34
	v_fma_f16 v68, v57, s4, v30
	v_fma_f16 v30, v57, s5, v30
	v_add_f16_e32 v57, v61, v32
	v_add_f16_e32 v32, v32, v34
	;; [unrolled: 1-line block ×3, first 2 shown]
	v_fma_f16 v32, v32, -0.5, v61
	v_sub_f16_e32 v34, v80, v81
	v_add_f16_e32 v69, v82, v79
	v_fma_f16 v61, v34, s5, v32
	v_fma_f16 v32, v34, s4, v32
	v_add_f16_e32 v34, v31, v82
	v_fma_f16 v31, v69, -0.5, v31
	v_sub_f16_e32 v69, v20, v21
	v_fma_f16 v71, v69, s4, v31
	v_fma_f16 v31, v69, s5, v31
	v_add_f16_e32 v69, v62, v20
	v_add_f16_e32 v20, v20, v21
	v_add_f16_e32 v69, v69, v21
	v_fma_f16 v20, v20, -0.5, v62
	v_sub_f16_e32 v21, v82, v79
	v_add_f16_e32 v72, v33, v35
	v_fma_f16 v62, v21, s5, v20
	v_fma_f16 v20, v21, s4, v20
	v_add_f16_e32 v21, v63, v33
	v_fma_f16 v63, v72, -0.5, v63
	v_sub_f16_e32 v72, v22, v23
	v_fma_f16 v74, v72, s4, v63
	v_fma_f16 v63, v72, s5, v63
	v_add_f16_e32 v72, v67, v22
	v_add_f16_e32 v22, v22, v23
	v_add_f16_e32 v21, v21, v35
	v_add_f16_e32 v72, v72, v23
	v_fma_f16 v22, v22, -0.5, v67
	v_sub_f16_e32 v23, v33, v35
	v_add_f16_e32 v35, v36, v37
	v_fma_f16 v33, v23, s5, v22
	v_fma_f16 v22, v23, s4, v22
	v_add_f16_e32 v23, v64, v36
	v_fma_f16 v35, v35, -0.5, v64
	v_sub_f16_e32 v64, v24, v25
	v_fma_f16 v67, v64, s4, v35
	v_fma_f16 v35, v64, s5, v35
	v_add_f16_e32 v64, v70, v24
	;; [unrolled: 14-line block ×4, first 2 shown]
	v_add_f16_e32 v28, v28, v29
	v_add_f16_e32 v56, v56, v81
	;; [unrolled: 1-line block ×3, first 2 shown]
	v_fma_f16 v28, v28, -0.5, v76
	v_sub_f16_e32 v29, v54, v55
	v_add_f16_e32 v34, v34, v79
	v_add_f16_e32 v27, v27, v55
	v_fma_f16 v54, v29, s5, v28
	v_fma_f16 v28, v29, s4, v28
	v_pack_b32_f16 v29, v56, v57
	v_pack_b32_f16 v55, v68, v61
	ds_write2_b32 v38, v29, v55 offset1:99
	v_pack_b32_f16 v29, v30, v32
	v_pack_b32_f16 v30, v34, v69
	ds_write2_b32 v50, v29, v30 offset0:70 offset1:169
	v_pack_b32_f16 v29, v71, v62
	v_pack_b32_f16 v20, v31, v20
	ds_write2_b32 v48, v29, v20 offset0:140 offset1:239
	v_lshl_add_u32 v20, v51, 2, 0
	v_pack_b32_f16 v21, v21, v72
	v_pack_b32_f16 v29, v74, v33
	v_add_u32_e32 v30, 0x800, v20
	ds_write2_b32 v30, v21, v29 offset0:82 offset1:181
	v_pack_b32_f16 v21, v63, v22
	ds_write_b32 v20, v21 offset:3168
	v_lshl_add_u32 v20, v58, 2, 0
	v_pack_b32_f16 v21, v23, v64
	v_pack_b32_f16 v22, v67, v36
	v_add_u32_e32 v23, 0xc00, v20
	ds_write2_b32 v23, v21, v22 offset0:123 offset1:222
	v_pack_b32_f16 v21, v35, v24
	ds_write_b32 v20, v21 offset:4356
	;; [unrolled: 7-line block ×4, first 2 shown]
	s_waitcnt lgkmcnt(0)
	s_barrier
	global_load_dwordx2 v[16:17], v[16:17], off offset:1144
	v_lshlrev_b32_e32 v20, 1, v19
	v_mov_b32_e32 v21, v5
	v_lshl_add_u64 v[20:21], v[20:21], 2, s[8:9]
	global_load_dwordx2 v[20:21], v[20:21], off offset:1144
	v_lshlrev_b32_e32 v22, 1, v0
	v_mov_b32_e32 v23, v5
	v_lshl_add_u64 v[22:23], v[22:23], 2, s[8:9]
	global_load_dwordx2 v[22:23], v[22:23], off offset:1144
	ds_read2_b32 v[24:25], v38 offset1:99
	ds_read2_b32 v[26:27], v43 offset0:82 offset1:181
	ds_read2_b32 v[28:29], v18 offset0:36 offset1:135
	;; [unrolled: 1-line block ×3, first 2 shown]
	ds_read_b32 v51, v39
	ds_read2_b32 v[32:33], v46 offset0:106 offset1:205
	ds_read_b32 v52, v40
	ds_read_b32 v53, v41
	;; [unrolled: 1-line block ×3, first 2 shown]
	s_waitcnt lgkmcnt(5)
	v_lshrrev_b32_e32 v56, 16, v30
	s_waitcnt lgkmcnt(3)
	v_lshrrev_b32_e32 v57, 16, v32
	v_lshrrev_b32_e32 v67, 16, v26
	ds_read2_b32 v[34:35], v49 offset0:94 offset1:193
	ds_read2_b32 v[36:37], v45 offset0:48 offset1:147
	v_lshrrev_b32_e32 v59, 16, v31
	v_lshrrev_b32_e32 v60, 16, v33
	;; [unrolled: 1-line block ×3, first 2 shown]
	s_waitcnt lgkmcnt(1)
	v_lshrrev_b32_e32 v62, 16, v34
	s_waitcnt lgkmcnt(0)
	v_lshrrev_b32_e32 v63, 16, v36
	v_lshrrev_b32_e32 v65, 16, v35
	;; [unrolled: 1-line block ×8, first 2 shown]
	s_barrier
	v_lshl_add_u64 v[0:1], v[0:1], 2, s[8:9]
	s_waitcnt vmcnt(2)
	v_mul_f16_sdwa v68, v16, v67 dst_sel:DWORD dst_unused:UNUSED_PAD src0_sel:WORD_1 src1_sel:DWORD
	v_fma_f16 v68, v16, v26, v68
	v_mul_f16_sdwa v26, v16, v26 dst_sel:DWORD dst_unused:UNUSED_PAD src0_sel:WORD_1 src1_sel:DWORD
	v_fma_f16 v26, v16, v67, -v26
	v_lshrrev_b32_e32 v67, 16, v28
	v_mul_f16_sdwa v69, v17, v67 dst_sel:DWORD dst_unused:UNUSED_PAD src0_sel:WORD_1 src1_sel:DWORD
	v_fma_f16 v69, v17, v28, v69
	v_mul_f16_sdwa v28, v17, v28 dst_sel:DWORD dst_unused:UNUSED_PAD src0_sel:WORD_1 src1_sel:DWORD
	v_fma_f16 v28, v17, v67, -v28
	v_lshrrev_b32_e32 v67, 16, v27
	s_waitcnt vmcnt(1)
	v_mul_f16_sdwa v70, v20, v67 dst_sel:DWORD dst_unused:UNUSED_PAD src0_sel:WORD_1 src1_sel:DWORD
	v_fma_f16 v70, v20, v27, v70
	v_mul_f16_sdwa v27, v20, v27 dst_sel:DWORD dst_unused:UNUSED_PAD src0_sel:WORD_1 src1_sel:DWORD
	v_fma_f16 v27, v20, v67, -v27
	v_lshrrev_b32_e32 v67, 16, v29
	v_mul_f16_sdwa v71, v21, v67 dst_sel:DWORD dst_unused:UNUSED_PAD src0_sel:WORD_1 src1_sel:DWORD
	v_fma_f16 v71, v21, v29, v71
	v_mul_f16_sdwa v29, v21, v29 dst_sel:DWORD dst_unused:UNUSED_PAD src0_sel:WORD_1 src1_sel:DWORD
	v_fma_f16 v29, v21, v67, -v29
	s_waitcnt vmcnt(0)
	v_mul_f16_sdwa v67, v56, v22 dst_sel:DWORD dst_unused:UNUSED_PAD src0_sel:DWORD src1_sel:WORD_1
	v_fma_f16 v67, v30, v22, v67
	v_mul_f16_sdwa v30, v30, v22 dst_sel:DWORD dst_unused:UNUSED_PAD src0_sel:DWORD src1_sel:WORD_1
	v_fma_f16 v30, v56, v22, -v30
	v_mul_f16_sdwa v56, v57, v23 dst_sel:DWORD dst_unused:UNUSED_PAD src0_sel:DWORD src1_sel:WORD_1
	v_fma_f16 v56, v32, v23, v56
	v_mul_f16_sdwa v32, v32, v23 dst_sel:DWORD dst_unused:UNUSED_PAD src0_sel:DWORD src1_sel:WORD_1
	v_fma_f16 v32, v57, v23, -v32
	;; [unrolled: 4-line block ×7, first 2 shown]
	v_mul_f16_sdwa v35, v66, v23 dst_sel:DWORD dst_unused:UNUSED_PAD src0_sel:DWORD src1_sel:WORD_1
	v_fma_f16 v35, v37, v23, v35
	v_mul_f16_sdwa v37, v37, v23 dst_sel:DWORD dst_unused:UNUSED_PAD src0_sel:DWORD src1_sel:WORD_1
	v_add_f16_e32 v59, v68, v69
	v_fma_f16 v23, v66, v23, -v37
	v_add_f16_e32 v37, v24, v68
	v_fma_f16 v24, v59, -0.5, v24
	v_sub_f16_e32 v59, v26, v28
	v_fma_f16 v60, v59, s4, v24
	v_fma_f16 v24, v59, s5, v24
	v_add_f16_e32 v59, v19, v26
	v_add_f16_e32 v26, v26, v28
	v_fma_f16 v19, v26, -0.5, v19
	v_sub_f16_e32 v26, v68, v69
	v_add_f16_e32 v62, v70, v71
	v_add_f16_e32 v59, v59, v28
	v_fma_f16 v28, v26, s5, v19
	v_fma_f16 v19, v26, s4, v19
	v_add_f16_e32 v26, v25, v70
	v_fma_f16 v25, v62, -0.5, v25
	v_sub_f16_e32 v62, v27, v29
	v_fma_f16 v63, v62, s4, v25
	v_fma_f16 v25, v62, s5, v25
	v_add_f16_e32 v62, v50, v27
	v_add_f16_e32 v27, v27, v29
	;; [unrolled: 1-line block ×3, first 2 shown]
	v_fma_f16 v27, v27, -0.5, v50
	v_sub_f16_e32 v29, v70, v71
	v_add_f16_e32 v65, v67, v56
	v_fma_f16 v50, v29, s5, v27
	v_fma_f16 v27, v29, s4, v27
	v_add_f16_e32 v29, v51, v67
	v_fma_f16 v51, v65, -0.5, v51
	v_sub_f16_e32 v65, v30, v32
	v_fma_f16 v66, v65, s4, v51
	v_fma_f16 v51, v65, s5, v51
	v_add_f16_e32 v65, v55, v30
	v_add_f16_e32 v30, v30, v32
	;; [unrolled: 1-line block ×4, first 2 shown]
	v_fma_f16 v30, v30, -0.5, v55
	v_sub_f16_e32 v32, v67, v56
	v_add_f16_e32 v56, v57, v31
	v_fma_f16 v55, v32, s5, v30
	v_fma_f16 v30, v32, s4, v30
	v_add_f16_e32 v32, v52, v57
	v_fma_f16 v52, v56, -0.5, v52
	v_sub_f16_e32 v56, v16, v17
	v_fma_f16 v67, v56, s4, v52
	v_fma_f16 v52, v56, s5, v52
	v_add_f16_e32 v56, v58, v16
	v_add_f16_e32 v16, v16, v17
	v_add_f16_e32 v56, v56, v17
	v_fma_f16 v16, v16, -0.5, v58
	v_sub_f16_e32 v17, v57, v31
	v_add_f16_e32 v57, v33, v34
	v_add_f16_e32 v32, v32, v31
	v_fma_f16 v31, v17, s5, v16
	v_fma_f16 v16, v17, s4, v16
	v_add_f16_e32 v17, v53, v33
	v_fma_f16 v53, v57, -0.5, v53
	v_sub_f16_e32 v57, v20, v21
	v_fma_f16 v58, v57, s4, v53
	v_fma_f16 v53, v57, s5, v53
	v_add_f16_e32 v57, v61, v20
	v_add_f16_e32 v20, v20, v21
	v_add_f16_e32 v17, v17, v34
	v_add_f16_e32 v57, v57, v21
	v_fma_f16 v20, v20, -0.5, v61
	v_sub_f16_e32 v21, v33, v34
	v_add_f16_e32 v34, v36, v35
	v_fma_f16 v33, v21, s5, v20
	v_fma_f16 v20, v21, s4, v20
	v_add_f16_e32 v21, v54, v36
	v_fma_f16 v34, v34, -0.5, v54
	v_sub_f16_e32 v54, v22, v23
	v_fma_f16 v61, v54, s4, v34
	v_fma_f16 v34, v54, s5, v34
	v_add_f16_e32 v54, v64, v22
	v_add_f16_e32 v22, v22, v23
	;; [unrolled: 1-line block ×5, first 2 shown]
	v_fma_f16 v22, v22, -0.5, v64
	v_sub_f16_e32 v23, v36, v35
	v_add_f16_e32 v21, v21, v35
	v_fma_f16 v35, v23, s5, v22
	v_fma_f16 v22, v23, s4, v22
	v_pack_b32_f16 v23, v37, v59
	v_pack_b32_f16 v19, v24, v19
	;; [unrolled: 1-line block ×4, first 2 shown]
	ds_write2_b32 v38, v23, v24 offset1:99
	v_pack_b32_f16 v23, v63, v50
	ds_write2_b32 v48, v28, v23 offset0:41 offset1:140
	v_pack_b32_f16 v23, v25, v27
	ds_write2_b32 v43, v19, v23 offset0:82 offset1:181
	v_pack_b32_f16 v19, v29, v65
	ds_write_b32 v39, v19
	v_pack_b32_f16 v19, v66, v55
	ds_write_b32 v39, v19 offset:1188
	v_pack_b32_f16 v19, v51, v30
	ds_write_b32 v39, v19 offset:2376
	v_pack_b32_f16 v19, v32, v56
	v_pack_b32_f16 v17, v17, v57
	;; [unrolled: 1-line block ×3, first 2 shown]
	ds_write2_b32 v47, v19, v17 offset0:123 offset1:222
	v_pack_b32_f16 v17, v58, v33
	v_pack_b32_f16 v16, v52, v16
	ds_write2_b32 v18, v23, v17 offset0:36 offset1:135
	v_pack_b32_f16 v17, v53, v20
	ds_write2_b32 v44, v16, v17 offset0:77 offset1:176
	v_pack_b32_f16 v16, v21, v54
	ds_write_b32 v39, v16 offset:3564
	v_pack_b32_f16 v16, v61, v35
	ds_write_b32 v39, v16 offset:4752
	;; [unrolled: 2-line block ×3, first 2 shown]
	s_waitcnt lgkmcnt(0)
	s_barrier
	global_load_dword v16, v[8:9], off offset:3520
	global_load_dword v17, v[0:1], off offset:3520
	v_lshl_add_u64 v[8:9], v[4:5], 2, s[8:9]
	global_load_dword v5, v[8:9], off offset:3916
	v_lshl_add_u64 v[0:1], v[10:11], 2, s[8:9]
	;; [unrolled: 2-line block ×4, first 2 shown]
	global_load_dword v21, v[0:1], off offset:3520
	v_add_co_u32_e32 v0, vcc, s11, v8
	s_nop 1
	v_addc_co_u32_e32 v1, vcc, 0, v9, vcc
	global_load_dword v22, v[0:1], off offset:1800
	global_load_dword v23, v[0:1], off offset:2196
	;; [unrolled: 1-line block ×3, first 2 shown]
	ds_read2_b32 v[0:1], v38 offset1:99
	ds_read2_b32 v[8:9], v47 offset0:24 offset1:123
	ds_read2_b32 v[10:11], v49 offset0:94 offset1:193
	;; [unrolled: 1-line block ×3, first 2 shown]
	ds_read_b32 v18, v39
	ds_read_b32 v25, v40
	;; [unrolled: 1-line block ×4, first 2 shown]
	ds_read2_b32 v[14:15], v43 offset0:82 offset1:181
	s_waitcnt vmcnt(8) lgkmcnt(7)
	v_pk_mul_f16 v28, v16, v9 op_sel:[0,1]
	s_nop 0
	v_pk_fma_f16 v29, v16, v9, v28 op_sel:[0,0,1] op_sel_hi:[1,1,0]
	v_pk_fma_f16 v9, v16, v9, v28 op_sel:[0,0,1] op_sel_hi:[1,0,0] neg_lo:[1,0,0] neg_hi:[1,0,0]
	s_nop 0
	v_bfi_b32 v9, s10, v29, v9
	v_pk_add_f16 v9, v0, v9 neg_lo:[0,1] neg_hi:[0,1]
	s_nop 0
	v_pk_fma_f16 v16, v0, 2.0, v9 op_sel_hi:[1,0,1] neg_lo:[0,0,1] neg_hi:[0,0,1]
	s_waitcnt vmcnt(6) lgkmcnt(6)
	v_pk_mul_f16 v0, v5, v10 op_sel:[0,1]
	s_nop 0
	v_pk_fma_f16 v28, v5, v10, v0 op_sel:[0,0,1] op_sel_hi:[1,1,0]
	v_pk_fma_f16 v0, v5, v10, v0 op_sel:[0,0,1] op_sel_hi:[1,0,0] neg_lo:[1,0,0] neg_hi:[1,0,0]
	s_waitcnt vmcnt(4) lgkmcnt(5)
	v_pk_mul_f16 v10, v13, v20 op_sel:[0,1]
	v_bfi_b32 v0, s10, v28, v0
	v_pk_add_f16 v5, v1, v0 neg_lo:[0,1] neg_hi:[0,1]
	v_pk_mul_f16 v0, v17, v11 op_sel:[0,1]
	v_pk_fma_f16 v28, v1, 2.0, v5 op_sel_hi:[1,0,1] neg_lo:[0,0,1] neg_hi:[0,0,1]
	v_pk_fma_f16 v1, v17, v11, v0 op_sel:[0,0,1] op_sel_hi:[1,1,0]
	v_pk_fma_f16 v0, v17, v11, v0 op_sel:[0,0,1] op_sel_hi:[1,0,0] neg_lo:[1,0,0] neg_hi:[1,0,0]
	v_pk_fma_f16 v11, v13, v20, v10 op_sel:[0,0,1] op_sel_hi:[1,1,0]
	v_bfi_b32 v0, s10, v1, v0
	s_waitcnt lgkmcnt(4)
	v_pk_add_f16 v17, v18, v0 neg_lo:[0,1] neg_hi:[0,1]
	v_pk_mul_f16 v0, v19, v12 op_sel:[0,1]
	v_pk_fma_f16 v10, v13, v20, v10 op_sel:[0,0,1] op_sel_hi:[1,0,0] neg_lo:[0,0,1] neg_hi:[0,0,1]
	v_pk_fma_f16 v1, v19, v12, v0 op_sel:[0,0,1] op_sel_hi:[1,1,0]
	v_pk_fma_f16 v0, v19, v12, v0 op_sel:[0,0,1] op_sel_hi:[1,0,0] neg_lo:[1,0,0] neg_hi:[1,0,0]
	v_bfi_b32 v10, s10, v11, v10
	v_bfi_b32 v0, s10, v1, v0
	s_waitcnt lgkmcnt(3)
	v_pk_add_f16 v12, v25, v0 neg_lo:[0,1] neg_hi:[0,1]
	ds_read2_b32 v[0:1], v46 offset0:106 offset1:205
	s_waitcnt lgkmcnt(3)
	v_pk_add_f16 v13, v26, v10 neg_lo:[0,1] neg_hi:[0,1]
	v_pk_fma_f16 v19, v25, 2.0, v12 op_sel_hi:[1,0,1] neg_lo:[0,0,1] neg_hi:[0,0,1]
	v_pk_fma_f16 v20, v26, 2.0, v13 op_sel_hi:[1,0,1] neg_lo:[0,0,1] neg_hi:[0,0,1]
	;; [unrolled: 1-line block ×3, first 2 shown]
	s_waitcnt vmcnt(3) lgkmcnt(0)
	v_pk_mul_f16 v10, v0, v21 op_sel:[0,1]
	s_waitcnt vmcnt(2)
	v_pk_mul_f16 v25, v1, v22 op_sel:[0,1]
	v_pk_fma_f16 v11, v0, v21, v10 op_sel:[0,0,1] op_sel_hi:[1,1,0]
	v_pk_fma_f16 v0, v0, v21, v10 op_sel:[0,0,1] op_sel_hi:[1,0,0] neg_lo:[0,0,1] neg_hi:[0,0,1]
	v_pk_fma_f16 v26, v1, v22, v25 op_sel:[0,0,1] op_sel_hi:[1,1,0]
	v_bfi_b32 v0, s10, v11, v0
	ds_read2_b32 v[10:11], v45 offset0:48 offset1:147
	v_pk_fma_f16 v1, v1, v22, v25 op_sel:[0,0,1] op_sel_hi:[1,0,0] neg_lo:[0,0,1] neg_hi:[0,0,1]
	v_pk_add_f16 v0, v27, v0 neg_lo:[0,1] neg_hi:[0,1]
	v_bfi_b32 v1, s10, v26, v1
	v_pk_add_f16 v1, v14, v1 neg_lo:[0,1] neg_hi:[0,1]
	s_waitcnt vmcnt(1) lgkmcnt(0)
	v_pk_mul_f16 v22, v10, v23 op_sel:[0,1]
	v_pk_fma_f16 v21, v27, 2.0, v0 op_sel_hi:[1,0,1] neg_lo:[0,0,1] neg_hi:[0,0,1]
	v_pk_fma_f16 v25, v10, v23, v22 op_sel:[0,0,1] op_sel_hi:[1,1,0]
	v_pk_fma_f16 v10, v10, v23, v22 op_sel:[0,0,1] op_sel_hi:[1,0,0] neg_lo:[0,0,1] neg_hi:[0,0,1]
	s_waitcnt vmcnt(0)
	v_pk_mul_f16 v22, v11, v24 op_sel:[0,1]
	v_bfi_b32 v10, s10, v25, v10
	v_pk_fma_f16 v23, v11, v24, v22 op_sel:[0,0,1] op_sel_hi:[1,1,0]
	v_pk_fma_f16 v11, v11, v24, v22 op_sel:[0,0,1] op_sel_hi:[1,0,0] neg_lo:[0,0,1] neg_hi:[0,0,1]
	v_pk_add_f16 v10, v15, v10 neg_lo:[0,1] neg_hi:[0,1]
	v_bfi_b32 v11, s10, v23, v11
	v_pk_add_f16 v11, v8, v11 neg_lo:[0,1] neg_hi:[0,1]
	v_pk_fma_f16 v14, v14, 2.0, v1 op_sel_hi:[1,0,1] neg_lo:[0,0,1] neg_hi:[0,0,1]
	v_pk_fma_f16 v15, v15, 2.0, v10 op_sel_hi:[1,0,1] neg_lo:[0,0,1] neg_hi:[0,0,1]
	;; [unrolled: 1-line block ×3, first 2 shown]
	s_barrier
	ds_write2_b32 v38, v16, v28 offset1:99
	ds_write2_b32 v47, v9, v5 offset0:123 offset1:222
	ds_write_b32 v39, v18
	ds_write_b32 v39, v17 offset:3564
	ds_write_b32 v40, v19
	ds_write_b32 v40, v12 offset:3564
	;; [unrolled: 2-line block ×4, first 2 shown]
	ds_write2_b32 v43, v14, v15 offset0:82 offset1:181
	ds_write2_b32 v44, v1, v10 offset0:77 offset1:176
	ds_write_b32 v38, v8 offset:3168
	ds_write_b32 v38, v11 offset:6732
	s_waitcnt lgkmcnt(0)
	s_barrier
	s_and_saveexec_b64 s[4:5], s[0:1]
	s_cbranch_execz .LBB0_23
; %bb.22:
	v_mul_lo_u32 v5, s3, v6
	v_mul_lo_u32 v7, s2, v7
	v_mad_u64_u32 v[0:1], s[0:1], s2, v6, 0
	v_lshl_add_u32 v10, v4, 2, 0
	v_add3_u32 v1, v1, v7, v5
	ds_read2_b32 v[6:7], v10 offset1:99
	v_lshl_add_u64 v[0:1], v[0:1], 2, s[6:7]
	v_mov_b32_e32 v5, 0
	v_lshl_add_u64 v[0:1], v[2:3], 2, v[0:1]
	v_lshl_add_u64 v[2:3], v[4:5], 2, v[0:1]
	s_waitcnt lgkmcnt(0)
	global_store_dword v[2:3], v6, off
	v_add_u32_e32 v6, 0x200, v10
	ds_read2_b32 v[8:9], v6 offset0:70 offset1:169
	v_add_u32_e32 v2, 0x63, v4
	v_mov_b32_e32 v3, v5
	v_lshl_add_u64 v[2:3], v[2:3], 2, v[0:1]
	global_store_dword v[2:3], v7, off
	v_add_u32_e32 v2, 0xc6, v4
	v_mov_b32_e32 v3, v5
	v_add_u32_e32 v6, 0x400, v10
	v_lshl_add_u64 v[2:3], v[2:3], 2, v[0:1]
	ds_read2_b32 v[6:7], v6 offset0:140 offset1:239
	s_waitcnt lgkmcnt(1)
	global_store_dword v[2:3], v8, off
	v_add_u32_e32 v2, 0x129, v4
	v_mov_b32_e32 v3, v5
	v_lshl_add_u64 v[2:3], v[2:3], 2, v[0:1]
	global_store_dword v[2:3], v9, off
	v_add_u32_e32 v2, 0x18c, v4
	v_mov_b32_e32 v3, v5
	v_lshl_add_u64 v[2:3], v[2:3], 2, v[0:1]
	s_waitcnt lgkmcnt(0)
	global_store_dword v[2:3], v6, off
	v_add_u32_e32 v6, 0x800, v10
	ds_read2_b32 v[8:9], v6 offset0:82 offset1:181
	v_add_u32_e32 v2, 0x1ef, v4
	v_mov_b32_e32 v3, v5
	v_lshl_add_u64 v[2:3], v[2:3], 2, v[0:1]
	global_store_dword v[2:3], v7, off
	v_add_u32_e32 v2, 0x252, v4
	v_mov_b32_e32 v3, v5
	v_add_u32_e32 v6, 0xc00, v10
	v_lshl_add_u64 v[2:3], v[2:3], 2, v[0:1]
	ds_read2_b32 v[6:7], v6 offset0:24 offset1:123
	s_waitcnt lgkmcnt(1)
	global_store_dword v[2:3], v8, off
	v_add_u32_e32 v2, 0x2b5, v4
	v_mov_b32_e32 v3, v5
	v_lshl_add_u64 v[2:3], v[2:3], 2, v[0:1]
	global_store_dword v[2:3], v9, off
	v_add_u32_e32 v2, 0x318, v4
	v_mov_b32_e32 v3, v5
	;; [unrolled: 22-line block ×4, first 2 shown]
	v_add_u32_e32 v4, 0x693, v4
	v_lshl_add_u64 v[2:3], v[2:3], 2, v[0:1]
	v_lshl_add_u64 v[0:1], v[4:5], 2, v[0:1]
	s_waitcnt lgkmcnt(0)
	global_store_dword v[2:3], v6, off
	global_store_dword v[0:1], v7, off
.LBB0_23:
	s_endpgm
	.section	.rodata,"a",@progbits
	.p2align	6, 0x0
	.amdhsa_kernel fft_rtc_back_len1782_factors_11_3_3_3_3_2_wgs_99_tpt_99_halfLds_half_op_CI_CI_unitstride_sbrr_C2R_dirReg
		.amdhsa_group_segment_fixed_size 0
		.amdhsa_private_segment_fixed_size 0
		.amdhsa_kernarg_size 104
		.amdhsa_user_sgpr_count 2
		.amdhsa_user_sgpr_dispatch_ptr 0
		.amdhsa_user_sgpr_queue_ptr 0
		.amdhsa_user_sgpr_kernarg_segment_ptr 1
		.amdhsa_user_sgpr_dispatch_id 0
		.amdhsa_user_sgpr_kernarg_preload_length 0
		.amdhsa_user_sgpr_kernarg_preload_offset 0
		.amdhsa_user_sgpr_private_segment_size 0
		.amdhsa_uses_dynamic_stack 0
		.amdhsa_enable_private_segment 0
		.amdhsa_system_sgpr_workgroup_id_x 1
		.amdhsa_system_sgpr_workgroup_id_y 0
		.amdhsa_system_sgpr_workgroup_id_z 0
		.amdhsa_system_sgpr_workgroup_info 0
		.amdhsa_system_vgpr_workitem_id 0
		.amdhsa_next_free_vgpr 96
		.amdhsa_next_free_sgpr 29
		.amdhsa_accum_offset 96
		.amdhsa_reserve_vcc 1
		.amdhsa_float_round_mode_32 0
		.amdhsa_float_round_mode_16_64 0
		.amdhsa_float_denorm_mode_32 3
		.amdhsa_float_denorm_mode_16_64 3
		.amdhsa_dx10_clamp 1
		.amdhsa_ieee_mode 1
		.amdhsa_fp16_overflow 0
		.amdhsa_tg_split 0
		.amdhsa_exception_fp_ieee_invalid_op 0
		.amdhsa_exception_fp_denorm_src 0
		.amdhsa_exception_fp_ieee_div_zero 0
		.amdhsa_exception_fp_ieee_overflow 0
		.amdhsa_exception_fp_ieee_underflow 0
		.amdhsa_exception_fp_ieee_inexact 0
		.amdhsa_exception_int_div_zero 0
	.end_amdhsa_kernel
	.text
.Lfunc_end0:
	.size	fft_rtc_back_len1782_factors_11_3_3_3_3_2_wgs_99_tpt_99_halfLds_half_op_CI_CI_unitstride_sbrr_C2R_dirReg, .Lfunc_end0-fft_rtc_back_len1782_factors_11_3_3_3_3_2_wgs_99_tpt_99_halfLds_half_op_CI_CI_unitstride_sbrr_C2R_dirReg
                                        ; -- End function
	.section	.AMDGPU.csdata,"",@progbits
; Kernel info:
; codeLenInByte = 15296
; NumSgprs: 35
; NumVgprs: 96
; NumAgprs: 0
; TotalNumVgprs: 96
; ScratchSize: 0
; MemoryBound: 0
; FloatMode: 240
; IeeeMode: 1
; LDSByteSize: 0 bytes/workgroup (compile time only)
; SGPRBlocks: 4
; VGPRBlocks: 11
; NumSGPRsForWavesPerEU: 35
; NumVGPRsForWavesPerEU: 96
; AccumOffset: 96
; Occupancy: 5
; WaveLimiterHint : 1
; COMPUTE_PGM_RSRC2:SCRATCH_EN: 0
; COMPUTE_PGM_RSRC2:USER_SGPR: 2
; COMPUTE_PGM_RSRC2:TRAP_HANDLER: 0
; COMPUTE_PGM_RSRC2:TGID_X_EN: 1
; COMPUTE_PGM_RSRC2:TGID_Y_EN: 0
; COMPUTE_PGM_RSRC2:TGID_Z_EN: 0
; COMPUTE_PGM_RSRC2:TIDIG_COMP_CNT: 0
; COMPUTE_PGM_RSRC3_GFX90A:ACCUM_OFFSET: 23
; COMPUTE_PGM_RSRC3_GFX90A:TG_SPLIT: 0
	.text
	.p2alignl 6, 3212836864
	.fill 256, 4, 3212836864
	.type	__hip_cuid_eccd7da6e409e85e,@object ; @__hip_cuid_eccd7da6e409e85e
	.section	.bss,"aw",@nobits
	.globl	__hip_cuid_eccd7da6e409e85e
__hip_cuid_eccd7da6e409e85e:
	.byte	0                               ; 0x0
	.size	__hip_cuid_eccd7da6e409e85e, 1

	.ident	"AMD clang version 19.0.0git (https://github.com/RadeonOpenCompute/llvm-project roc-6.4.0 25133 c7fe45cf4b819c5991fe208aaa96edf142730f1d)"
	.section	".note.GNU-stack","",@progbits
	.addrsig
	.addrsig_sym __hip_cuid_eccd7da6e409e85e
	.amdgpu_metadata
---
amdhsa.kernels:
  - .agpr_count:     0
    .args:
      - .actual_access:  read_only
        .address_space:  global
        .offset:         0
        .size:           8
        .value_kind:     global_buffer
      - .offset:         8
        .size:           8
        .value_kind:     by_value
      - .actual_access:  read_only
        .address_space:  global
        .offset:         16
        .size:           8
        .value_kind:     global_buffer
      - .actual_access:  read_only
        .address_space:  global
        .offset:         24
        .size:           8
        .value_kind:     global_buffer
      - .actual_access:  read_only
        .address_space:  global
        .offset:         32
        .size:           8
        .value_kind:     global_buffer
      - .offset:         40
        .size:           8
        .value_kind:     by_value
      - .actual_access:  read_only
        .address_space:  global
        .offset:         48
        .size:           8
        .value_kind:     global_buffer
      - .actual_access:  read_only
        .address_space:  global
        .offset:         56
        .size:           8
        .value_kind:     global_buffer
      - .offset:         64
        .size:           4
        .value_kind:     by_value
      - .actual_access:  read_only
        .address_space:  global
        .offset:         72
        .size:           8
        .value_kind:     global_buffer
      - .actual_access:  read_only
        .address_space:  global
        .offset:         80
        .size:           8
        .value_kind:     global_buffer
      - .actual_access:  read_only
        .address_space:  global
        .offset:         88
        .size:           8
        .value_kind:     global_buffer
      - .actual_access:  write_only
        .address_space:  global
        .offset:         96
        .size:           8
        .value_kind:     global_buffer
    .group_segment_fixed_size: 0
    .kernarg_segment_align: 8
    .kernarg_segment_size: 104
    .language:       OpenCL C
    .language_version:
      - 2
      - 0
    .max_flat_workgroup_size: 99
    .name:           fft_rtc_back_len1782_factors_11_3_3_3_3_2_wgs_99_tpt_99_halfLds_half_op_CI_CI_unitstride_sbrr_C2R_dirReg
    .private_segment_fixed_size: 0
    .sgpr_count:     35
    .sgpr_spill_count: 0
    .symbol:         fft_rtc_back_len1782_factors_11_3_3_3_3_2_wgs_99_tpt_99_halfLds_half_op_CI_CI_unitstride_sbrr_C2R_dirReg.kd
    .uniform_work_group_size: 1
    .uses_dynamic_stack: false
    .vgpr_count:     96
    .vgpr_spill_count: 0
    .wavefront_size: 64
amdhsa.target:   amdgcn-amd-amdhsa--gfx950
amdhsa.version:
  - 1
  - 2
...

	.end_amdgpu_metadata
